;; amdgpu-corpus repo=ROCm/rocFFT kind=compiled arch=gfx1201 opt=O3
	.text
	.amdgcn_target "amdgcn-amd-amdhsa--gfx1201"
	.amdhsa_code_object_version 6
	.protected	fft_rtc_back_len1092_factors_2_2_13_7_3_wgs_52_tpt_52_halfLds_half_ip_CI_unitstride_sbrr_C2R_dirReg ; -- Begin function fft_rtc_back_len1092_factors_2_2_13_7_3_wgs_52_tpt_52_halfLds_half_ip_CI_unitstride_sbrr_C2R_dirReg
	.globl	fft_rtc_back_len1092_factors_2_2_13_7_3_wgs_52_tpt_52_halfLds_half_ip_CI_unitstride_sbrr_C2R_dirReg
	.p2align	8
	.type	fft_rtc_back_len1092_factors_2_2_13_7_3_wgs_52_tpt_52_halfLds_half_ip_CI_unitstride_sbrr_C2R_dirReg,@function
fft_rtc_back_len1092_factors_2_2_13_7_3_wgs_52_tpt_52_halfLds_half_ip_CI_unitstride_sbrr_C2R_dirReg: ; @fft_rtc_back_len1092_factors_2_2_13_7_3_wgs_52_tpt_52_halfLds_half_ip_CI_unitstride_sbrr_C2R_dirReg
; %bb.0:
	s_clause 0x2
	s_load_b128 s[4:7], s[0:1], 0x0
	s_load_b64 s[8:9], s[0:1], 0x50
	s_load_b64 s[10:11], s[0:1], 0x18
	v_mul_u32_u24_e32 v1, 0x4ed, v0
	v_mov_b32_e32 v3, 0
	s_delay_alu instid0(VALU_DEP_2) | instskip(NEXT) | instid1(VALU_DEP_1)
	v_lshrrev_b32_e32 v1, 16, v1
	v_add_nc_u32_e32 v5, ttmp9, v1
	v_mov_b32_e32 v1, 0
	v_mov_b32_e32 v2, 0
	;; [unrolled: 1-line block ×3, first 2 shown]
	s_wait_kmcnt 0x0
	v_cmp_lt_u64_e64 s2, s[6:7], 2
	s_delay_alu instid0(VALU_DEP_1)
	s_and_b32 vcc_lo, exec_lo, s2
	s_cbranch_vccnz .LBB0_8
; %bb.1:
	s_load_b64 s[2:3], s[0:1], 0x10
	v_mov_b32_e32 v1, 0
	v_mov_b32_e32 v2, 0
	s_add_nc_u64 s[12:13], s[10:11], 8
	s_mov_b64 s[14:15], 1
	s_wait_kmcnt 0x0
	s_add_nc_u64 s[16:17], s[2:3], 8
	s_mov_b32 s3, 0
.LBB0_2:                                ; =>This Inner Loop Header: Depth=1
	s_load_b64 s[18:19], s[16:17], 0x0
                                        ; implicit-def: $vgpr7_vgpr8
	s_mov_b32 s2, exec_lo
	s_wait_kmcnt 0x0
	v_or_b32_e32 v4, s19, v6
	s_delay_alu instid0(VALU_DEP_1)
	v_cmpx_ne_u64_e32 0, v[3:4]
	s_wait_alu 0xfffe
	s_xor_b32 s20, exec_lo, s2
	s_cbranch_execz .LBB0_4
; %bb.3:                                ;   in Loop: Header=BB0_2 Depth=1
	s_cvt_f32_u32 s2, s18
	s_cvt_f32_u32 s21, s19
	s_sub_nc_u64 s[24:25], 0, s[18:19]
	s_wait_alu 0xfffe
	s_delay_alu instid0(SALU_CYCLE_1) | instskip(SKIP_1) | instid1(SALU_CYCLE_2)
	s_fmamk_f32 s2, s21, 0x4f800000, s2
	s_wait_alu 0xfffe
	v_s_rcp_f32 s2, s2
	s_delay_alu instid0(TRANS32_DEP_1) | instskip(SKIP_1) | instid1(SALU_CYCLE_2)
	s_mul_f32 s2, s2, 0x5f7ffffc
	s_wait_alu 0xfffe
	s_mul_f32 s21, s2, 0x2f800000
	s_wait_alu 0xfffe
	s_delay_alu instid0(SALU_CYCLE_2) | instskip(SKIP_1) | instid1(SALU_CYCLE_2)
	s_trunc_f32 s21, s21
	s_wait_alu 0xfffe
	s_fmamk_f32 s2, s21, 0xcf800000, s2
	s_cvt_u32_f32 s23, s21
	s_wait_alu 0xfffe
	s_delay_alu instid0(SALU_CYCLE_1) | instskip(SKIP_1) | instid1(SALU_CYCLE_2)
	s_cvt_u32_f32 s22, s2
	s_wait_alu 0xfffe
	s_mul_u64 s[26:27], s[24:25], s[22:23]
	s_wait_alu 0xfffe
	s_mul_hi_u32 s29, s22, s27
	s_mul_i32 s28, s22, s27
	s_mul_hi_u32 s2, s22, s26
	s_mul_i32 s30, s23, s26
	s_wait_alu 0xfffe
	s_add_nc_u64 s[28:29], s[2:3], s[28:29]
	s_mul_hi_u32 s21, s23, s26
	s_mul_hi_u32 s31, s23, s27
	s_add_co_u32 s2, s28, s30
	s_wait_alu 0xfffe
	s_add_co_ci_u32 s2, s29, s21
	s_mul_i32 s26, s23, s27
	s_add_co_ci_u32 s27, s31, 0
	s_wait_alu 0xfffe
	s_add_nc_u64 s[26:27], s[2:3], s[26:27]
	s_wait_alu 0xfffe
	v_add_co_u32 v4, s2, s22, s26
	s_delay_alu instid0(VALU_DEP_1) | instskip(SKIP_1) | instid1(VALU_DEP_1)
	s_cmp_lg_u32 s2, 0
	s_add_co_ci_u32 s23, s23, s27
	v_readfirstlane_b32 s22, v4
	s_wait_alu 0xfffe
	s_delay_alu instid0(VALU_DEP_1)
	s_mul_u64 s[24:25], s[24:25], s[22:23]
	s_wait_alu 0xfffe
	s_mul_hi_u32 s27, s22, s25
	s_mul_i32 s26, s22, s25
	s_mul_hi_u32 s2, s22, s24
	s_mul_i32 s28, s23, s24
	s_wait_alu 0xfffe
	s_add_nc_u64 s[26:27], s[2:3], s[26:27]
	s_mul_hi_u32 s21, s23, s24
	s_mul_hi_u32 s22, s23, s25
	s_wait_alu 0xfffe
	s_add_co_u32 s2, s26, s28
	s_add_co_ci_u32 s2, s27, s21
	s_mul_i32 s24, s23, s25
	s_add_co_ci_u32 s25, s22, 0
	s_wait_alu 0xfffe
	s_add_nc_u64 s[24:25], s[2:3], s[24:25]
	s_wait_alu 0xfffe
	v_add_co_u32 v4, s2, v4, s24
	s_delay_alu instid0(VALU_DEP_1) | instskip(SKIP_1) | instid1(VALU_DEP_1)
	s_cmp_lg_u32 s2, 0
	s_add_co_ci_u32 s2, s23, s25
	v_mul_hi_u32 v13, v5, v4
	s_wait_alu 0xfffe
	v_mad_co_u64_u32 v[7:8], null, v5, s2, 0
	v_mad_co_u64_u32 v[9:10], null, v6, v4, 0
	;; [unrolled: 1-line block ×3, first 2 shown]
	s_delay_alu instid0(VALU_DEP_3) | instskip(SKIP_1) | instid1(VALU_DEP_4)
	v_add_co_u32 v4, vcc_lo, v13, v7
	s_wait_alu 0xfffd
	v_add_co_ci_u32_e32 v7, vcc_lo, 0, v8, vcc_lo
	s_delay_alu instid0(VALU_DEP_2) | instskip(SKIP_1) | instid1(VALU_DEP_2)
	v_add_co_u32 v4, vcc_lo, v4, v9
	s_wait_alu 0xfffd
	v_add_co_ci_u32_e32 v4, vcc_lo, v7, v10, vcc_lo
	s_wait_alu 0xfffd
	v_add_co_ci_u32_e32 v7, vcc_lo, 0, v12, vcc_lo
	s_delay_alu instid0(VALU_DEP_2) | instskip(SKIP_1) | instid1(VALU_DEP_2)
	v_add_co_u32 v4, vcc_lo, v4, v11
	s_wait_alu 0xfffd
	v_add_co_ci_u32_e32 v9, vcc_lo, 0, v7, vcc_lo
	s_delay_alu instid0(VALU_DEP_2) | instskip(SKIP_1) | instid1(VALU_DEP_3)
	v_mul_lo_u32 v10, s19, v4
	v_mad_co_u64_u32 v[7:8], null, s18, v4, 0
	v_mul_lo_u32 v11, s18, v9
	s_delay_alu instid0(VALU_DEP_2) | instskip(NEXT) | instid1(VALU_DEP_2)
	v_sub_co_u32 v7, vcc_lo, v5, v7
	v_add3_u32 v8, v8, v11, v10
	s_delay_alu instid0(VALU_DEP_1) | instskip(SKIP_1) | instid1(VALU_DEP_1)
	v_sub_nc_u32_e32 v10, v6, v8
	s_wait_alu 0xfffd
	v_subrev_co_ci_u32_e64 v10, s2, s19, v10, vcc_lo
	v_add_co_u32 v11, s2, v4, 2
	s_wait_alu 0xf1ff
	v_add_co_ci_u32_e64 v12, s2, 0, v9, s2
	v_sub_co_u32 v13, s2, v7, s18
	v_sub_co_ci_u32_e32 v8, vcc_lo, v6, v8, vcc_lo
	s_wait_alu 0xf1ff
	v_subrev_co_ci_u32_e64 v10, s2, 0, v10, s2
	s_delay_alu instid0(VALU_DEP_3) | instskip(NEXT) | instid1(VALU_DEP_3)
	v_cmp_le_u32_e32 vcc_lo, s18, v13
	v_cmp_eq_u32_e64 s2, s19, v8
	s_wait_alu 0xfffd
	v_cndmask_b32_e64 v13, 0, -1, vcc_lo
	v_cmp_le_u32_e32 vcc_lo, s19, v10
	s_wait_alu 0xfffd
	v_cndmask_b32_e64 v14, 0, -1, vcc_lo
	v_cmp_le_u32_e32 vcc_lo, s18, v7
	;; [unrolled: 3-line block ×3, first 2 shown]
	s_wait_alu 0xfffd
	v_cndmask_b32_e64 v15, 0, -1, vcc_lo
	v_cmp_eq_u32_e32 vcc_lo, s19, v10
	s_wait_alu 0xf1ff
	s_delay_alu instid0(VALU_DEP_2)
	v_cndmask_b32_e64 v7, v15, v7, s2
	s_wait_alu 0xfffd
	v_cndmask_b32_e32 v10, v14, v13, vcc_lo
	v_add_co_u32 v13, vcc_lo, v4, 1
	s_wait_alu 0xfffd
	v_add_co_ci_u32_e32 v14, vcc_lo, 0, v9, vcc_lo
	s_delay_alu instid0(VALU_DEP_3) | instskip(SKIP_2) | instid1(VALU_DEP_3)
	v_cmp_ne_u32_e32 vcc_lo, 0, v10
	s_wait_alu 0xfffd
	v_cndmask_b32_e32 v10, v13, v11, vcc_lo
	v_cndmask_b32_e32 v8, v14, v12, vcc_lo
	v_cmp_ne_u32_e32 vcc_lo, 0, v7
	s_wait_alu 0xfffd
	s_delay_alu instid0(VALU_DEP_2)
	v_dual_cndmask_b32 v7, v4, v10 :: v_dual_cndmask_b32 v8, v9, v8
.LBB0_4:                                ;   in Loop: Header=BB0_2 Depth=1
	s_wait_alu 0xfffe
	s_and_not1_saveexec_b32 s2, s20
	s_cbranch_execz .LBB0_6
; %bb.5:                                ;   in Loop: Header=BB0_2 Depth=1
	v_cvt_f32_u32_e32 v4, s18
	s_sub_co_i32 s20, 0, s18
	s_delay_alu instid0(VALU_DEP_1) | instskip(NEXT) | instid1(TRANS32_DEP_1)
	v_rcp_iflag_f32_e32 v4, v4
	v_mul_f32_e32 v4, 0x4f7ffffe, v4
	s_delay_alu instid0(VALU_DEP_1) | instskip(SKIP_1) | instid1(VALU_DEP_1)
	v_cvt_u32_f32_e32 v4, v4
	s_wait_alu 0xfffe
	v_mul_lo_u32 v7, s20, v4
	s_delay_alu instid0(VALU_DEP_1) | instskip(NEXT) | instid1(VALU_DEP_1)
	v_mul_hi_u32 v7, v4, v7
	v_add_nc_u32_e32 v4, v4, v7
	s_delay_alu instid0(VALU_DEP_1) | instskip(NEXT) | instid1(VALU_DEP_1)
	v_mul_hi_u32 v4, v5, v4
	v_mul_lo_u32 v7, v4, s18
	v_add_nc_u32_e32 v8, 1, v4
	s_delay_alu instid0(VALU_DEP_2) | instskip(NEXT) | instid1(VALU_DEP_1)
	v_sub_nc_u32_e32 v7, v5, v7
	v_subrev_nc_u32_e32 v9, s18, v7
	v_cmp_le_u32_e32 vcc_lo, s18, v7
	s_wait_alu 0xfffd
	s_delay_alu instid0(VALU_DEP_2) | instskip(NEXT) | instid1(VALU_DEP_1)
	v_dual_cndmask_b32 v7, v7, v9 :: v_dual_cndmask_b32 v4, v4, v8
	v_cmp_le_u32_e32 vcc_lo, s18, v7
	s_delay_alu instid0(VALU_DEP_2) | instskip(SKIP_1) | instid1(VALU_DEP_1)
	v_add_nc_u32_e32 v8, 1, v4
	s_wait_alu 0xfffd
	v_dual_cndmask_b32 v7, v4, v8 :: v_dual_mov_b32 v8, v3
.LBB0_6:                                ;   in Loop: Header=BB0_2 Depth=1
	s_wait_alu 0xfffe
	s_or_b32 exec_lo, exec_lo, s2
	s_load_b64 s[20:21], s[12:13], 0x0
	s_delay_alu instid0(VALU_DEP_1)
	v_mul_lo_u32 v4, v8, s18
	v_mul_lo_u32 v11, v7, s19
	v_mad_co_u64_u32 v[9:10], null, v7, s18, 0
	s_add_nc_u64 s[14:15], s[14:15], 1
	s_add_nc_u64 s[12:13], s[12:13], 8
	s_wait_alu 0xfffe
	v_cmp_ge_u64_e64 s2, s[14:15], s[6:7]
	s_add_nc_u64 s[16:17], s[16:17], 8
	s_delay_alu instid0(VALU_DEP_2) | instskip(NEXT) | instid1(VALU_DEP_3)
	v_add3_u32 v4, v10, v11, v4
	v_sub_co_u32 v5, vcc_lo, v5, v9
	s_wait_alu 0xfffd
	s_delay_alu instid0(VALU_DEP_2) | instskip(SKIP_3) | instid1(VALU_DEP_2)
	v_sub_co_ci_u32_e32 v4, vcc_lo, v6, v4, vcc_lo
	s_and_b32 vcc_lo, exec_lo, s2
	s_wait_kmcnt 0x0
	v_mul_lo_u32 v6, s21, v5
	v_mul_lo_u32 v4, s20, v4
	v_mad_co_u64_u32 v[1:2], null, s20, v5, v[1:2]
	s_delay_alu instid0(VALU_DEP_1)
	v_add3_u32 v2, v6, v2, v4
	s_wait_alu 0xfffe
	s_cbranch_vccnz .LBB0_9
; %bb.7:                                ;   in Loop: Header=BB0_2 Depth=1
	v_dual_mov_b32 v5, v7 :: v_dual_mov_b32 v6, v8
	s_branch .LBB0_2
.LBB0_8:
	v_dual_mov_b32 v8, v6 :: v_dual_mov_b32 v7, v5
.LBB0_9:
	s_lshl_b64 s[2:3], s[6:7], 3
	v_mul_hi_u32 v5, 0x4ec4ec5, v0
	s_wait_alu 0xfffe
	s_add_nc_u64 s[2:3], s[10:11], s[2:3]
	s_load_b64 s[2:3], s[2:3], 0x0
	s_load_b64 s[0:1], s[0:1], 0x20
	s_wait_kmcnt 0x0
	v_mul_lo_u32 v3, s2, v8
	v_mul_lo_u32 v4, s3, v7
	v_mad_co_u64_u32 v[1:2], null, s2, v7, v[1:2]
	v_cmp_gt_u64_e32 vcc_lo, s[0:1], v[7:8]
	s_delay_alu instid0(VALU_DEP_2) | instskip(SKIP_1) | instid1(VALU_DEP_2)
	v_add3_u32 v2, v4, v2, v3
	v_mul_u32_u24_e32 v3, 52, v5
	v_lshlrev_b64_e32 v[14:15], 2, v[1:2]
	s_delay_alu instid0(VALU_DEP_2)
	v_sub_nc_u32_e32 v12, v0, v3
	s_and_saveexec_b32 s1, vcc_lo
	s_cbranch_execz .LBB0_13
; %bb.10:
	v_mov_b32_e32 v13, 0
	s_delay_alu instid0(VALU_DEP_3) | instskip(SKIP_2) | instid1(VALU_DEP_3)
	v_add_co_u32 v0, s0, s8, v14
	s_wait_alu 0xf1ff
	v_add_co_ci_u32_e64 v1, s0, s9, v15, s0
	v_lshlrev_b64_e32 v[2:3], 2, v[12:13]
	s_mov_b32 s2, exec_lo
	s_delay_alu instid0(VALU_DEP_1) | instskip(SKIP_1) | instid1(VALU_DEP_2)
	v_add_co_u32 v2, s0, v0, v2
	s_wait_alu 0xf1ff
	v_add_co_ci_u32_e64 v3, s0, v1, v3, s0
	s_clause 0x14
	global_load_b32 v4, v[2:3], off
	global_load_b32 v5, v[2:3], off offset:208
	global_load_b32 v6, v[2:3], off offset:416
	;; [unrolled: 1-line block ×20, first 2 shown]
	v_lshl_add_u32 v3, v12, 2, 0
	s_delay_alu instid0(VALU_DEP_1)
	v_add_nc_u32_e32 v28, 0x200, v3
	v_add_nc_u32_e32 v29, 0x400, v3
	v_add_nc_u32_e32 v30, 0x800, v3
	v_add_nc_u32_e32 v31, 0xa00, v3
	v_add_nc_u32_e32 v32, 0xc00, v3
	s_wait_loadcnt 0x13
	ds_store_2addr_b32 v3, v4, v5 offset1:52
	s_wait_loadcnt 0x11
	ds_store_2addr_b32 v3, v6, v7 offset0:104 offset1:156
	s_wait_loadcnt 0xf
	ds_store_2addr_b32 v28, v8, v9 offset0:80 offset1:132
	;; [unrolled: 2-line block ×9, first 2 shown]
	s_wait_loadcnt 0x0
	ds_store_b32 v3, v2 offset:4160
	v_cmpx_eq_u32_e32 51, v12
	s_cbranch_execz .LBB0_12
; %bb.11:
	global_load_b32 v0, v[0:1], off offset:4368
	v_mov_b32_e32 v12, 51
	s_wait_loadcnt 0x0
	ds_store_b32 v13, v0 offset:4368
.LBB0_12:
	s_wait_alu 0xfffe
	s_or_b32 exec_lo, exec_lo, s2
.LBB0_13:
	s_wait_alu 0xfffe
	s_or_b32 exec_lo, exec_lo, s1
	v_lshlrev_b32_e32 v0, 2, v12
	global_wb scope:SCOPE_SE
	s_wait_dscnt 0x0
	s_barrier_signal -1
	s_barrier_wait -1
	global_inv scope:SCOPE_SE
	v_add_nc_u32_e32 v48, 0, v0
	v_sub_nc_u32_e32 v2, 0, v0
	s_mov_b32 s1, exec_lo
                                        ; implicit-def: $vgpr0_vgpr1
	ds_load_u16 v5, v48
	ds_load_u16 v6, v2 offset:4368
	s_wait_dscnt 0x0
	v_add_f16_e32 v4, v6, v5
	v_sub_f16_e32 v3, v5, v6
	v_cmpx_ne_u32_e32 0, v12
	s_wait_alu 0xfffe
	s_xor_b32 s1, exec_lo, s1
	s_cbranch_execz .LBB0_15
; %bb.14:
	v_mov_b32_e32 v13, 0
	v_add_f16_e32 v4, v6, v5
	v_sub_f16_e32 v5, v5, v6
	s_delay_alu instid0(VALU_DEP_3) | instskip(NEXT) | instid1(VALU_DEP_1)
	v_lshlrev_b64_e32 v[0:1], 2, v[12:13]
	v_add_co_u32 v0, s0, s4, v0
	s_wait_alu 0xf1ff
	s_delay_alu instid0(VALU_DEP_2)
	v_add_co_ci_u32_e64 v1, s0, s5, v1, s0
	global_load_b32 v0, v[0:1], off offset:4360
	ds_load_u16 v1, v2 offset:4370
	ds_load_u16 v3, v48 offset:2
	s_wait_dscnt 0x0
	v_add_f16_e32 v6, v1, v3
	v_sub_f16_e32 v1, v3, v1
	s_wait_loadcnt 0x0
	v_lshrrev_b32_e32 v7, 16, v0
	s_delay_alu instid0(VALU_DEP_1) | instskip(NEXT) | instid1(VALU_DEP_3)
	v_fma_f16 v8, -v5, v7, v4
	v_fma_f16 v9, v6, v7, -v1
	v_fma_f16 v3, v6, v7, v1
	v_fma_f16 v4, v5, v7, v4
	s_delay_alu instid0(VALU_DEP_4) | instskip(NEXT) | instid1(VALU_DEP_4)
	v_fmac_f16_e32 v8, v0, v6
	v_fmac_f16_e32 v9, v5, v0
	s_delay_alu instid0(VALU_DEP_4) | instskip(NEXT) | instid1(VALU_DEP_4)
	v_fmac_f16_e32 v3, v5, v0
	v_fma_f16 v4, -v0, v6, v4
	v_dual_mov_b32 v0, v12 :: v_dual_mov_b32 v1, v13
	s_delay_alu instid0(VALU_DEP_4)
	v_pack_b32_f16 v5, v8, v9
	ds_store_b32 v2, v5 offset:4368
.LBB0_15:
	s_wait_alu 0xfffe
	s_and_not1_saveexec_b32 s0, s1
	s_cbranch_execz .LBB0_17
; %bb.16:
	v_mov_b32_e32 v5, 0
	ds_load_b32 v0, v5 offset:2184
	s_wait_dscnt 0x0
	v_pk_mul_f16 v6, 0xc0004000, v0
	v_mov_b32_e32 v0, 0
	v_mov_b32_e32 v1, 0
	ds_store_b32 v5, v6 offset:2184
.LBB0_17:
	s_wait_alu 0xfffe
	s_or_b32 exec_lo, exec_lo, s0
	v_lshlrev_b64_e32 v[0:1], 2, v[0:1]
	s_add_nc_u64 s[0:1], s[4:5], 0x1108
	v_perm_b32 v3, v3, v4, 0x5040100
	s_wait_alu 0xfffe
	s_delay_alu instid0(VALU_DEP_2)
	v_add_co_u32 v0, s0, s0, v0
	s_wait_alu 0xf1ff
	v_add_co_ci_u32_e64 v1, s0, s1, v1, s0
	v_cmp_gt_u32_e64 s0, 26, v12
	s_clause 0x5
	global_load_b32 v5, v[0:1], off offset:208
	global_load_b32 v6, v[0:1], off offset:416
	;; [unrolled: 1-line block ×6, first 2 shown]
	ds_store_b32 v48, v3
	global_load_b32 v3, v[0:1], off offset:1456
	ds_load_b32 v4, v48 offset:208
	ds_load_b32 v11, v2 offset:4160
	global_load_b32 v17, v[0:1], off offset:1664
	s_wait_dscnt 0x1
	v_lshrrev_b32_e32 v13, 16, v4
	s_wait_dscnt 0x0
	v_lshrrev_b32_e32 v16, 16, v11
	v_add_f16_e32 v18, v4, v11
	v_sub_f16_e32 v4, v4, v11
	s_delay_alu instid0(VALU_DEP_3) | instskip(SKIP_3) | instid1(VALU_DEP_1)
	v_add_f16_e32 v11, v16, v13
	v_sub_f16_e32 v13, v13, v16
	s_wait_loadcnt 0x7
	v_lshrrev_b32_e32 v19, 16, v5
	v_fma_f16 v16, v4, v19, v18
	s_delay_alu instid0(VALU_DEP_3) | instskip(SKIP_2) | instid1(VALU_DEP_4)
	v_fma_f16 v20, v11, v19, v13
	v_fma_f16 v18, -v4, v19, v18
	v_fma_f16 v13, v11, v19, -v13
	v_fma_f16 v16, -v5, v11, v16
	s_delay_alu instid0(VALU_DEP_4) | instskip(NEXT) | instid1(VALU_DEP_4)
	v_fmac_f16_e32 v20, v4, v5
	v_fmac_f16_e32 v18, v5, v11
	s_delay_alu instid0(VALU_DEP_4) | instskip(NEXT) | instid1(VALU_DEP_3)
	v_fmac_f16_e32 v13, v4, v5
	v_pack_b32_f16 v4, v16, v20
	s_wait_loadcnt 0x6
	v_lshrrev_b32_e32 v16, 16, v6
	s_delay_alu instid0(VALU_DEP_3)
	v_pack_b32_f16 v5, v18, v13
	ds_store_b32 v48, v4 offset:208
	ds_store_b32 v2, v5 offset:4160
	ds_load_b32 v4, v48 offset:416
	ds_load_b32 v5, v2 offset:3952
	s_wait_dscnt 0x1
	v_lshrrev_b32_e32 v11, 16, v4
	s_wait_dscnt 0x0
	v_lshrrev_b32_e32 v13, 16, v5
	v_add_f16_e32 v18, v4, v5
	v_sub_f16_e32 v4, v4, v5
	s_delay_alu instid0(VALU_DEP_3) | instskip(SKIP_1) | instid1(VALU_DEP_3)
	v_add_f16_e32 v5, v13, v11
	v_sub_f16_e32 v11, v11, v13
	v_fma_f16 v13, v4, v16, v18
	v_fma_f16 v18, -v4, v16, v18
	s_delay_alu instid0(VALU_DEP_3) | instskip(SKIP_1) | instid1(VALU_DEP_4)
	v_fma_f16 v19, v5, v16, v11
	v_fma_f16 v11, v5, v16, -v11
	v_fma_f16 v13, -v6, v5, v13
	s_delay_alu instid0(VALU_DEP_4)
	v_fmac_f16_e32 v18, v6, v5
	s_wait_loadcnt 0x5
	v_lshrrev_b32_e32 v16, 16, v7
	v_fmac_f16_e32 v19, v4, v6
	v_fmac_f16_e32 v11, v4, v6
	global_load_b32 v6, v[0:1], off offset:1872
	v_pack_b32_f16 v4, v13, v19
	v_pack_b32_f16 v5, v18, v11
	ds_store_b32 v48, v4 offset:416
	ds_store_b32 v2, v5 offset:3952
	ds_load_b32 v4, v48 offset:624
	ds_load_b32 v5, v2 offset:3744
	s_wait_dscnt 0x1
	v_lshrrev_b32_e32 v11, 16, v4
	s_wait_dscnt 0x0
	v_lshrrev_b32_e32 v13, 16, v5
	v_add_f16_e32 v18, v4, v5
	v_sub_f16_e32 v4, v4, v5
	s_delay_alu instid0(VALU_DEP_3) | instskip(SKIP_1) | instid1(VALU_DEP_3)
	v_add_f16_e32 v5, v13, v11
	v_sub_f16_e32 v11, v11, v13
	v_fma_f16 v13, v4, v16, v18
	v_fma_f16 v18, -v4, v16, v18
	s_delay_alu instid0(VALU_DEP_3) | instskip(SKIP_1) | instid1(VALU_DEP_4)
	v_fma_f16 v19, v5, v16, v11
	v_fma_f16 v11, v5, v16, -v11
	v_fma_f16 v13, -v7, v5, v13
	s_delay_alu instid0(VALU_DEP_4) | instskip(NEXT) | instid1(VALU_DEP_4)
	v_fmac_f16_e32 v18, v7, v5
	v_fmac_f16_e32 v19, v4, v7
	s_delay_alu instid0(VALU_DEP_4) | instskip(NEXT) | instid1(VALU_DEP_2)
	v_fmac_f16_e32 v11, v4, v7
	v_pack_b32_f16 v4, v13, v19
	s_delay_alu instid0(VALU_DEP_2)
	v_pack_b32_f16 v5, v18, v11
	ds_store_b32 v48, v4 offset:624
	ds_store_b32 v2, v5 offset:3744
	ds_load_b32 v4, v48 offset:832
	ds_load_b32 v5, v2 offset:3536
	s_wait_loadcnt 0x5
	v_lshrrev_b32_e32 v13, 16, v8
	s_wait_dscnt 0x1
	v_lshrrev_b32_e32 v7, 16, v4
	s_wait_dscnt 0x0
	v_lshrrev_b32_e32 v11, 16, v5
	v_add_f16_e32 v16, v4, v5
	v_sub_f16_e32 v4, v4, v5
	s_delay_alu instid0(VALU_DEP_3) | instskip(SKIP_1) | instid1(VALU_DEP_3)
	v_add_f16_e32 v5, v11, v7
	v_sub_f16_e32 v7, v7, v11
	v_fma_f16 v11, v4, v13, v16
	v_fma_f16 v16, -v4, v13, v16
	s_delay_alu instid0(VALU_DEP_3) | instskip(SKIP_1) | instid1(VALU_DEP_4)
	v_fma_f16 v18, v5, v13, v7
	v_fma_f16 v7, v5, v13, -v7
	v_fma_f16 v11, -v8, v5, v11
	s_delay_alu instid0(VALU_DEP_4) | instskip(NEXT) | instid1(VALU_DEP_4)
	v_fmac_f16_e32 v16, v8, v5
	v_fmac_f16_e32 v18, v4, v8
	s_delay_alu instid0(VALU_DEP_4) | instskip(NEXT) | instid1(VALU_DEP_2)
	v_fmac_f16_e32 v7, v4, v8
	v_pack_b32_f16 v4, v11, v18
	s_delay_alu instid0(VALU_DEP_2)
	v_pack_b32_f16 v5, v16, v7
	ds_store_b32 v48, v4 offset:832
	ds_store_b32 v2, v5 offset:3536
	ds_load_b32 v4, v48 offset:1040
	ds_load_b32 v5, v2 offset:3328
	s_wait_loadcnt 0x4
	v_lshrrev_b32_e32 v11, 16, v9
	s_wait_dscnt 0x1
	v_lshrrev_b32_e32 v7, 16, v4
	s_wait_dscnt 0x0
	v_lshrrev_b32_e32 v8, 16, v5
	v_add_f16_e32 v13, v4, v5
	v_sub_f16_e32 v4, v4, v5
	s_delay_alu instid0(VALU_DEP_3) | instskip(SKIP_1) | instid1(VALU_DEP_3)
	v_add_f16_e32 v5, v8, v7
	v_sub_f16_e32 v7, v7, v8
	v_fma_f16 v8, v4, v11, v13
	v_fma_f16 v13, -v4, v11, v13
	s_delay_alu instid0(VALU_DEP_3) | instskip(SKIP_1) | instid1(VALU_DEP_4)
	v_fma_f16 v16, v5, v11, v7
	v_fma_f16 v7, v5, v11, -v7
	v_fma_f16 v8, -v9, v5, v8
	s_delay_alu instid0(VALU_DEP_4) | instskip(NEXT) | instid1(VALU_DEP_4)
	v_fmac_f16_e32 v13, v9, v5
	v_fmac_f16_e32 v16, v4, v9
	s_delay_alu instid0(VALU_DEP_4) | instskip(SKIP_2) | instid1(VALU_DEP_3)
	v_fmac_f16_e32 v7, v4, v9
	s_wait_loadcnt 0x3
	v_lshrrev_b32_e32 v9, 16, v10
	v_pack_b32_f16 v4, v8, v16
	s_delay_alu instid0(VALU_DEP_3)
	v_pack_b32_f16 v5, v13, v7
	ds_store_b32 v48, v4 offset:1040
	ds_store_b32 v2, v5 offset:3328
	ds_load_b32 v4, v48 offset:1248
	ds_load_b32 v5, v2 offset:3120
	s_wait_dscnt 0x1
	v_lshrrev_b32_e32 v7, 16, v4
	s_wait_dscnt 0x0
	v_lshrrev_b32_e32 v8, 16, v5
	v_add_f16_e32 v11, v4, v5
	v_sub_f16_e32 v4, v4, v5
	s_delay_alu instid0(VALU_DEP_3) | instskip(SKIP_1) | instid1(VALU_DEP_3)
	v_add_f16_e32 v5, v8, v7
	v_sub_f16_e32 v7, v7, v8
	v_fma_f16 v8, v4, v9, v11
	v_fma_f16 v11, -v4, v9, v11
	s_delay_alu instid0(VALU_DEP_3) | instskip(SKIP_1) | instid1(VALU_DEP_4)
	v_fma_f16 v13, v5, v9, v7
	v_fma_f16 v7, v5, v9, -v7
	v_fma_f16 v8, -v10, v5, v8
	s_delay_alu instid0(VALU_DEP_4) | instskip(SKIP_4) | instid1(VALU_DEP_2)
	v_fmac_f16_e32 v11, v10, v5
	s_wait_loadcnt 0x2
	v_lshrrev_b32_e32 v9, 16, v3
	v_fmac_f16_e32 v13, v4, v10
	v_fmac_f16_e32 v7, v4, v10
	v_pack_b32_f16 v4, v8, v13
	s_delay_alu instid0(VALU_DEP_2)
	v_pack_b32_f16 v5, v11, v7
	ds_store_b32 v48, v4 offset:1248
	ds_store_b32 v2, v5 offset:3120
	ds_load_b32 v4, v48 offset:1456
	ds_load_b32 v5, v2 offset:2912
	s_wait_dscnt 0x1
	v_lshrrev_b32_e32 v7, 16, v4
	s_wait_dscnt 0x0
	v_lshrrev_b32_e32 v8, 16, v5
	v_add_f16_e32 v10, v4, v5
	v_sub_f16_e32 v4, v4, v5
	s_delay_alu instid0(VALU_DEP_3) | instskip(SKIP_1) | instid1(VALU_DEP_3)
	v_add_f16_e32 v5, v8, v7
	v_sub_f16_e32 v7, v7, v8
	v_fma_f16 v8, v4, v9, v10
	v_fma_f16 v10, -v4, v9, v10
	s_delay_alu instid0(VALU_DEP_3) | instskip(SKIP_1) | instid1(VALU_DEP_4)
	v_fma_f16 v11, v5, v9, v7
	v_fma_f16 v7, v5, v9, -v7
	v_fma_f16 v8, -v3, v5, v8
	s_delay_alu instid0(VALU_DEP_4) | instskip(NEXT) | instid1(VALU_DEP_4)
	v_fmac_f16_e32 v10, v3, v5
	v_fmac_f16_e32 v11, v4, v3
	s_delay_alu instid0(VALU_DEP_4) | instskip(NEXT) | instid1(VALU_DEP_2)
	v_fmac_f16_e32 v7, v4, v3
	v_pack_b32_f16 v3, v8, v11
	s_delay_alu instid0(VALU_DEP_2)
	v_pack_b32_f16 v4, v10, v7
	ds_store_b32 v48, v3 offset:1456
	ds_store_b32 v2, v4 offset:2912
	ds_load_b32 v3, v48 offset:1664
	ds_load_b32 v4, v2 offset:2704
	s_wait_loadcnt 0x1
	v_lshrrev_b32_e32 v8, 16, v17
	s_wait_dscnt 0x1
	v_lshrrev_b32_e32 v5, 16, v3
	s_wait_dscnt 0x0
	v_lshrrev_b32_e32 v7, 16, v4
	v_add_f16_e32 v9, v3, v4
	v_sub_f16_e32 v3, v3, v4
	s_delay_alu instid0(VALU_DEP_3) | instskip(SKIP_1) | instid1(VALU_DEP_3)
	v_add_f16_e32 v4, v7, v5
	v_sub_f16_e32 v5, v5, v7
	v_fma_f16 v7, v3, v8, v9
	v_fma_f16 v9, -v3, v8, v9
	s_delay_alu instid0(VALU_DEP_3) | instskip(SKIP_1) | instid1(VALU_DEP_4)
	v_fma_f16 v10, v4, v8, v5
	v_fma_f16 v5, v4, v8, -v5
	v_fma_f16 v7, -v17, v4, v7
	s_delay_alu instid0(VALU_DEP_4) | instskip(NEXT) | instid1(VALU_DEP_4)
	v_fmac_f16_e32 v9, v17, v4
	v_fmac_f16_e32 v10, v3, v17
	s_delay_alu instid0(VALU_DEP_4) | instskip(NEXT) | instid1(VALU_DEP_2)
	v_fmac_f16_e32 v5, v3, v17
	v_pack_b32_f16 v3, v7, v10
	s_delay_alu instid0(VALU_DEP_2)
	v_pack_b32_f16 v4, v9, v5
	ds_store_b32 v48, v3 offset:1664
	ds_store_b32 v2, v4 offset:2704
	ds_load_b32 v3, v48 offset:1872
	ds_load_b32 v4, v2 offset:2496
	s_wait_dscnt 0x1
	v_lshrrev_b32_e32 v5, 16, v3
	s_wait_dscnt 0x0
	v_lshrrev_b32_e32 v7, 16, v4
	v_add_f16_e32 v9, v3, v4
	v_sub_f16_e32 v3, v3, v4
	s_delay_alu instid0(VALU_DEP_3) | instskip(SKIP_3) | instid1(VALU_DEP_1)
	v_add_f16_e32 v4, v7, v5
	v_sub_f16_e32 v5, v5, v7
	s_wait_loadcnt 0x0
	v_lshrrev_b32_e32 v8, 16, v6
	v_fma_f16 v7, v3, v8, v9
	s_delay_alu instid0(VALU_DEP_3) | instskip(SKIP_2) | instid1(VALU_DEP_4)
	v_fma_f16 v10, v4, v8, v5
	v_fma_f16 v9, -v3, v8, v9
	v_fma_f16 v5, v4, v8, -v5
	v_fma_f16 v7, -v6, v4, v7
	s_delay_alu instid0(VALU_DEP_4) | instskip(NEXT) | instid1(VALU_DEP_4)
	v_fmac_f16_e32 v10, v3, v6
	v_fmac_f16_e32 v9, v6, v4
	s_delay_alu instid0(VALU_DEP_4) | instskip(NEXT) | instid1(VALU_DEP_3)
	v_fmac_f16_e32 v5, v3, v6
	v_pack_b32_f16 v3, v7, v10
	s_delay_alu instid0(VALU_DEP_2)
	v_pack_b32_f16 v4, v9, v5
	ds_store_b32 v48, v3 offset:1872
	ds_store_b32 v2, v4 offset:2496
	s_and_saveexec_b32 s1, s0
	s_cbranch_execz .LBB0_19
; %bb.18:
	global_load_b32 v0, v[0:1], off offset:2080
	ds_load_b32 v1, v48 offset:2080
	ds_load_b32 v3, v2 offset:2288
	s_wait_dscnt 0x1
	v_lshrrev_b32_e32 v4, 16, v1
	s_wait_dscnt 0x0
	v_lshrrev_b32_e32 v5, 16, v3
	v_add_f16_e32 v6, v1, v3
	v_sub_f16_e32 v1, v1, v3
	s_delay_alu instid0(VALU_DEP_3) | instskip(SKIP_3) | instid1(VALU_DEP_1)
	v_add_f16_e32 v3, v5, v4
	v_sub_f16_e32 v4, v4, v5
	s_wait_loadcnt 0x0
	v_lshrrev_b32_e32 v7, 16, v0
	v_fma_f16 v5, v1, v7, v6
	s_delay_alu instid0(VALU_DEP_3) | instskip(SKIP_2) | instid1(VALU_DEP_4)
	v_fma_f16 v8, v3, v7, v4
	v_fma_f16 v6, -v1, v7, v6
	v_fma_f16 v4, v3, v7, -v4
	v_fma_f16 v5, -v0, v3, v5
	s_delay_alu instid0(VALU_DEP_4) | instskip(NEXT) | instid1(VALU_DEP_4)
	v_fmac_f16_e32 v8, v1, v0
	v_fmac_f16_e32 v6, v0, v3
	s_delay_alu instid0(VALU_DEP_4) | instskip(NEXT) | instid1(VALU_DEP_3)
	v_fmac_f16_e32 v4, v1, v0
	v_pack_b32_f16 v0, v5, v8
	s_delay_alu instid0(VALU_DEP_2)
	v_pack_b32_f16 v1, v6, v4
	ds_store_b32 v48, v0 offset:2080
	ds_store_b32 v2, v1 offset:2288
.LBB0_19:
	s_wait_alu 0xfffe
	s_or_b32 exec_lo, exec_lo, s1
	v_add_nc_u32_e32 v4, 0x800, v48
	v_add_nc_u32_e32 v2, 0xe00, v48
	global_wb scope:SCOPE_SE
	s_wait_dscnt 0x0
	s_barrier_signal -1
	s_barrier_wait -1
	global_inv scope:SCOPE_SE
	global_wb scope:SCOPE_SE
	s_barrier_signal -1
	s_barrier_wait -1
	global_inv scope:SCOPE_SE
	ds_load_2addr_b32 v[0:1], v4 offset0:8 offset1:34
	ds_load_2addr_b32 v[2:3], v2 offset0:118 offset1:170
	ds_load_2addr_b32 v[6:7], v48 offset1:52
	v_add_nc_u32_e32 v5, 0x200, v48
	v_add_nc_u32_e32 v16, 0xc00, v48
	;; [unrolled: 1-line block ×3, first 2 shown]
	ds_load_2addr_b32 v[9:10], v4 offset0:86 offset1:138
	ds_load_2addr_b32 v[20:21], v48 offset0:104 offset1:156
	;; [unrolled: 1-line block ×7, first 2 shown]
	v_add_nc_u32_e32 v17, 52, v12
	v_add_nc_u32_e32 v13, 0x68, v12
	;; [unrolled: 1-line block ×8, first 2 shown]
	s_wait_dscnt 0x8
	v_pk_add_f16 v32, v0, v3 neg_lo:[0,1] neg_hi:[0,1]
	s_wait_dscnt 0x7
	v_pk_add_f16 v3, v6, v1 neg_lo:[0,1] neg_hi:[0,1]
	v_add_nc_u32_e32 v39, 0x1d4, v12
	v_add_nc_u32_e32 v34, 0x208, v12
	v_lshl_add_u32 v11, v12, 3, 0
	v_pk_fma_f16 v33, v0, 2.0, v32 op_sel_hi:[1,0,1] neg_lo:[0,0,1] neg_hi:[0,0,1]
	ds_load_2addr_b32 v[0:1], v16 offset0:142 offset1:194
	s_wait_dscnt 0x7
	v_pk_add_f16 v9, v7, v9 neg_lo:[0,1] neg_hi:[0,1]
	s_wait_dscnt 0x6
	v_pk_add_f16 v10, v20, v10 neg_lo:[0,1] neg_hi:[0,1]
	;; [unrolled: 2-line block ×4, first 2 shown]
	v_pk_fma_f16 v6, v6, 2.0, v3 op_sel_hi:[1,0,1] neg_lo:[0,0,1] neg_hi:[0,0,1]
	s_wait_dscnt 0x3
	v_pk_add_f16 v26, v25, v26 neg_lo:[0,1] neg_hi:[0,1]
	s_wait_dscnt 0x2
	v_pk_add_f16 v27, v28, v27 neg_lo:[0,1] neg_hi:[0,1]
	;; [unrolled: 2-line block ×3, first 2 shown]
	v_lshl_add_u32 v40, v17, 3, 0
	v_pk_fma_f16 v7, v7, 2.0, v9 op_sel_hi:[1,0,1] neg_lo:[0,0,1] neg_hi:[0,0,1]
	v_lshl_add_u32 v41, v13, 3, 0
	v_pk_fma_f16 v20, v20, 2.0, v10 op_sel_hi:[1,0,1] neg_lo:[0,0,1] neg_hi:[0,0,1]
	;; [unrolled: 2-line block ×5, first 2 shown]
	v_lshl_add_u32 v45, v36, 3, 0
	s_wait_dscnt 0x0
	v_pk_add_f16 v0, v29, v0 neg_lo:[0,1] neg_hi:[0,1]
	v_pk_add_f16 v1, v30, v1 neg_lo:[0,1] neg_hi:[0,1]
	v_pk_fma_f16 v28, v28, 2.0, v27 op_sel_hi:[1,0,1] neg_lo:[0,0,1] neg_hi:[0,0,1]
	v_lshl_add_u32 v46, v37, 3, 0
	v_lshl_add_u32 v47, v38, 3, 0
	v_pk_fma_f16 v29, v29, 2.0, v0 op_sel_hi:[1,0,1] neg_lo:[0,0,1] neg_hi:[0,0,1]
	v_pk_fma_f16 v30, v30, 2.0, v1 op_sel_hi:[1,0,1] neg_lo:[0,0,1] neg_hi:[0,0,1]
	v_lshl_add_u32 v49, v39, 3, 0
	v_pk_fma_f16 v31, v31, 2.0, v2 op_sel_hi:[1,0,1] neg_lo:[0,0,1] neg_hi:[0,0,1]
	global_wb scope:SCOPE_SE
	s_barrier_signal -1
	s_barrier_wait -1
	global_inv scope:SCOPE_SE
	ds_store_2addr_b32 v11, v6, v3 offset1:1
	ds_store_2addr_b32 v40, v7, v9 offset1:1
	;; [unrolled: 1-line block ×10, first 2 shown]
	s_and_saveexec_b32 s1, s0
	s_cbranch_execz .LBB0_21
; %bb.20:
	v_lshl_add_u32 v0, v34, 3, 0
	ds_store_2addr_b32 v0, v33, v32 offset1:1
.LBB0_21:
	s_wait_alu 0xfffe
	s_or_b32 exec_lo, exec_lo, s1
	v_add_nc_u32_e32 v6, 0xa00, v48
	global_wb scope:SCOPE_SE
	s_wait_dscnt 0x0
	s_barrier_signal -1
	s_barrier_wait -1
	global_inv scope:SCOPE_SE
	ds_load_2addr_b32 v[0:1], v48 offset1:52
	ds_load_2addr_b32 v[30:31], v4 offset0:34 offset1:86
	ds_load_2addr_b32 v[2:3], v48 offset0:104 offset1:156
	;; [unrolled: 1-line block ×9, first 2 shown]
	v_lshlrev_b32_e32 v16, 1, v12
	v_lshlrev_b32_e32 v23, 1, v17
	;; [unrolled: 1-line block ×10, first 2 shown]
	v_lshrrev_b32_e32 v36, 16, v32
	s_and_saveexec_b32 s1, s0
	s_cbranch_execz .LBB0_23
; %bb.22:
	ds_load_b32 v32, v48 offset:4264
	ds_load_b32 v33, v48 offset:2080
	s_wait_dscnt 0x1
	v_lshrrev_b32_e32 v36, 16, v32
.LBB0_23:
	s_wait_alu 0xfffe
	s_or_b32 exec_lo, exec_lo, s1
	v_and_b32_e32 v35, 1, v12
	s_wait_dscnt 0x0
	v_lshrrev_b32_e32 v41, 16, v33
	s_delay_alu instid0(VALU_DEP_2)
	v_lshlrev_b32_e32 v40, 2, v35
	v_and_or_b32 v42, 0x7c, v16, v35
	v_and_or_b32 v43, 0xfc, v23, v35
	;; [unrolled: 1-line block ×4, first 2 shown]
	global_load_b32 v40, v40, s[4:5]
	v_and_or_b32 v46, 0x3fc, v20, v35
	v_and_or_b32 v47, 0x2fc, v19, v35
	;; [unrolled: 1-line block ×6, first 2 shown]
	v_lshl_add_u32 v42, v42, 2, 0
	v_lshl_add_u32 v43, v43, 2, 0
	v_lshl_add_u32 v44, v44, 2, 0
	v_lshl_add_u32 v45, v45, 2, 0
	v_lshl_add_u32 v46, v46, 2, 0
	v_lshl_add_u32 v47, v47, 2, 0
	v_lshl_add_u32 v49, v49, 2, 0
	v_lshl_add_u32 v37, v37, 2, 0
	v_lshl_add_u32 v38, v38, 2, 0
	v_lshl_add_u32 v39, v39, 2, 0
	global_wb scope:SCOPE_SE
	s_wait_loadcnt 0x0
	s_barrier_signal -1
	s_barrier_wait -1
	global_inv scope:SCOPE_SE
	v_pk_mul_f16 v50, v40, v25 op_sel:[0,1]
	v_lshrrev_b32_e32 v51, 16, v40
	v_pk_mul_f16 v52, v40, v30 op_sel:[0,1]
	v_pk_mul_f16 v53, v40, v31 op_sel:[0,1]
	;; [unrolled: 1-line block ×9, first 2 shown]
	v_pk_fma_f16 v61, v40, v25, v50 op_sel:[0,0,1] op_sel_hi:[1,1,0]
	v_pk_fma_f16 v25, v40, v25, v50 op_sel:[0,0,1] op_sel_hi:[1,0,0] neg_lo:[1,0,0] neg_hi:[1,0,0]
	v_mul_f16_e32 v50, v36, v51
	v_mul_f16_e32 v51, v32, v51
	v_pk_fma_f16 v62, v40, v30, v52 op_sel:[0,0,1] op_sel_hi:[1,1,0]
	v_pk_fma_f16 v30, v40, v30, v52 op_sel:[0,0,1] op_sel_hi:[1,0,0] neg_lo:[1,0,0] neg_hi:[1,0,0]
	v_pk_fma_f16 v52, v40, v31, v53 op_sel:[0,0,1] op_sel_hi:[1,1,0]
	v_pk_fma_f16 v31, v40, v31, v53 op_sel:[0,0,1] op_sel_hi:[1,0,0] neg_lo:[1,0,0] neg_hi:[1,0,0]
	;; [unrolled: 2-line block ×9, first 2 shown]
	v_bfi_b32 v25, 0xffff, v61, v25
	v_fmac_f16_e32 v50, v32, v40
	v_fma_f16 v32, v36, v40, -v51
	v_bfi_b32 v36, 0xffff, v62, v30
	v_bfi_b32 v28, 0xffff, v53, v28
	;; [unrolled: 1-line block ×9, first 2 shown]
	v_pk_add_f16 v26, v9, v25 neg_lo:[0,1] neg_hi:[0,1]
	v_sub_f16_e32 v30, v33, v50
	v_sub_f16_e32 v52, v41, v32
	v_pk_add_f16 v36, v0, v36 neg_lo:[0,1] neg_hi:[0,1]
	v_pk_add_f16 v50, v2, v28 neg_lo:[0,1] neg_hi:[0,1]
	v_pk_add_f16 v32, v7, v11 neg_lo:[0,1] neg_hi:[0,1]
	v_pk_add_f16 v28, v8, v51 neg_lo:[0,1] neg_hi:[0,1]
	v_pk_add_f16 v31, v1, v31 neg_lo:[0,1] neg_hi:[0,1]
	v_pk_add_f16 v53, v3, v29 neg_lo:[0,1] neg_hi:[0,1]
	v_pk_add_f16 v40, v4, v40 neg_lo:[0,1] neg_hi:[0,1]
	v_pk_add_f16 v54, v5, v27 neg_lo:[0,1] neg_hi:[0,1]
	v_pk_add_f16 v24, v6, v10 neg_lo:[0,1] neg_hi:[0,1]
	v_pk_fma_f16 v29, v9, 2.0, v26 op_sel_hi:[1,0,1] neg_lo:[0,0,1] neg_hi:[0,0,1]
	v_fma_f16 v27, v33, 2.0, -v30
	v_fma_f16 v51, v41, 2.0, -v52
	v_pk_fma_f16 v0, v0, 2.0, v36 op_sel_hi:[1,0,1] neg_lo:[0,0,1] neg_hi:[0,0,1]
	v_pk_fma_f16 v25, v7, 2.0, v32 op_sel_hi:[1,0,1] neg_lo:[0,0,1] neg_hi:[0,0,1]
	;; [unrolled: 1-line block ×9, first 2 shown]
	ds_store_2addr_b32 v42, v0, v36 offset1:2
	ds_store_2addr_b32 v43, v1, v31 offset1:2
	;; [unrolled: 1-line block ×10, first 2 shown]
	s_and_saveexec_b32 s1, s0
	s_cbranch_execz .LBB0_25
; %bb.24:
	v_lshlrev_b32_e32 v0, 1, v34
	v_perm_b32 v1, v51, v27, 0x5040100
	v_perm_b32 v2, v52, v30, 0x5040100
	s_delay_alu instid0(VALU_DEP_3) | instskip(NEXT) | instid1(VALU_DEP_1)
	v_and_or_b32 v0, 0x47c, v0, v35
	v_lshl_add_u32 v0, v0, 2, 0
	ds_store_2addr_b32 v0, v1, v2 offset1:2
.LBB0_25:
	s_wait_alu 0xfffe
	s_or_b32 exec_lo, exec_lo, s1
	v_add_nc_u32_e32 v2, 0x400, v48
	v_add_nc_u32_e32 v3, 0x600, v48
	;; [unrolled: 1-line block ×4, first 2 shown]
	global_wb scope:SCOPE_SE
	s_wait_dscnt 0x0
	s_barrier_signal -1
	s_barrier_wait -1
	global_inv scope:SCOPE_SE
	ds_load_2addr_b32 v[36:37], v48 offset1:84
	ds_load_2addr_b32 v[46:47], v48 offset0:168 offset1:252
	ds_load_2addr_b32 v[44:45], v2 offset0:80 offset1:164
	;; [unrolled: 1-line block ×5, first 2 shown]
	ds_load_b32 v87, v48 offset:4032
	v_cmp_gt_u32_e64 s0, 32, v12
	v_lshrrev_b32_e32 v54, 16, v29
	v_lshrrev_b32_e32 v53, 16, v26
	;; [unrolled: 1-line block ×7, first 2 shown]
                                        ; implicit-def: $vgpr63
                                        ; implicit-def: $vgpr62
                                        ; implicit-def: $vgpr61
                                        ; implicit-def: $vgpr35
                                        ; implicit-def: $vgpr59
                                        ; implicit-def: $vgpr57
	s_and_saveexec_b32 s1, s0
	s_cbranch_execz .LBB0_27
; %bb.26:
	ds_load_2addr_b32 v[24:25], v48 offset0:52 offset1:136
	ds_load_2addr_b32 v[28:29], v2 offset0:132 offset1:216
	v_add_nc_u32_e32 v2, 0x200, v48
	ds_load_2addr_b32 v[26:27], v1 offset0:44 offset1:128
	v_add_nc_u32_e32 v1, 0xa00, v48
	ds_load_2addr_b32 v[34:35], v0 offset0:124 offset1:208
	ds_load_2addr_b32 v[32:33], v2 offset0:92 offset1:176
	;; [unrolled: 1-line block ×3, first 2 shown]
	ds_load_b32 v62, v48 offset:4240
	s_wait_dscnt 0x6
	v_lshrrev_b32_e32 v49, 16, v24
	v_lshrrev_b32_e32 v60, 16, v25
	s_wait_dscnt 0x5
	v_lshrrev_b32_e32 v55, 16, v28
	v_lshrrev_b32_e32 v54, 16, v29
	;; [unrolled: 3-line block ×6, first 2 shown]
	s_wait_dscnt 0x0
	v_lshrrev_b32_e32 v63, 16, v62
.LBB0_27:
	s_wait_alu 0xfffe
	s_or_b32 exec_lo, exec_lo, s1
	v_and_b32_e32 v50, 3, v12
	s_wait_dscnt 0x1
	v_lshrrev_b32_e32 v91, 16, v39
	v_lshrrev_b32_e32 v93, 16, v37
	;; [unrolled: 1-line block ×3, first 2 shown]
	s_wait_dscnt 0x0
	v_lshrrev_b32_e32 v92, 16, v87
	v_mul_u32_u24_e32 v0, 12, v50
	v_lshrrev_b32_e32 v95, 16, v47
	v_lshrrev_b32_e32 v96, 16, v44
	v_lshrrev_b32_e32 v98, 16, v42
	v_lshrrev_b32_e32 v99, 16, v43
	v_lshlrev_b32_e32 v8, 2, v0
	v_lshrrev_b32_e32 v100, 16, v40
	v_lshrrev_b32_e32 v84, 16, v36
	;; [unrolled: 1-line block ×4, first 2 shown]
	s_clause 0x2
	global_load_b128 v[4:7], v8, s[4:5] offset:8
	global_load_b128 v[0:3], v8, s[4:5] offset:24
	;; [unrolled: 1-line block ×3, first 2 shown]
	v_lshrrev_b32_e32 v97, 16, v45
	global_wb scope:SCOPE_SE
	s_wait_loadcnt 0x0
	s_barrier_signal -1
	s_barrier_wait -1
	global_inv scope:SCOPE_SE
	v_lshrrev_b32_e32 v74, 16, v4
	v_lshrrev_b32_e32 v72, 16, v5
	;; [unrolled: 1-line block ×5, first 2 shown]
	v_mul_f16_e32 v102, v74, v37
	v_lshrrev_b32_e32 v64, 16, v1
	v_lshrrev_b32_e32 v65, 16, v2
	;; [unrolled: 1-line block ×5, first 2 shown]
	v_mul_f16_e32 v90, v72, v94
	v_mul_f16_e32 v103, v72, v46
	;; [unrolled: 1-line block ×5, first 2 shown]
	v_fma_f16 v102, v4, v93, -v102
	v_lshrrev_b32_e32 v66, 16, v0
	v_lshrrev_b32_e32 v69, 16, v8
	v_mul_f16_e32 v101, v74, v93
	v_mul_f16_e32 v86, v70, v95
	;; [unrolled: 1-line block ×11, first 2 shown]
	v_fmac_f16_e32 v90, v5, v46
	v_fma_f16 v93, v5, v94, -v103
	v_fma_f16 v46, v7, v96, -v105
	v_fmac_f16_e32 v79, v39, v10
	v_fma_f16 v39, v91, v10, -v112
	v_add_f16_e32 v96, v102, v84
	v_mul_f16_e32 v83, v66, v97
	v_mul_f16_e32 v107, v64, v42
	;; [unrolled: 1-line block ×6, first 2 shown]
	v_fmac_f16_e32 v101, v4, v37
	v_fmac_f16_e32 v86, v6, v47
	v_fma_f16 v47, v6, v95, -v104
	v_fmac_f16_e32 v76, v1, v42
	v_fmac_f16_e32 v77, v2, v43
	v_fma_f16 v42, v2, v99, -v108
	v_fmac_f16_e32 v82, v3, v40
	v_fma_f16 v43, v3, v100, -v109
	v_fma_f16 v40, v89, v9, -v111
	v_fmac_f16_e32 v78, v87, v11
	v_add_f16_e32 v99, v93, v39
	v_sub_f16_e32 v100, v93, v39
	v_add_f16_e32 v93, v96, v93
	v_mul_f16_e32 v106, v66, v45
	v_fmac_f16_e32 v83, v0, v45
	v_fmac_f16_e32 v81, v41, v8
	v_fma_f16 v41, v88, v8, -v110
	v_fmac_f16_e32 v80, v38, v9
	v_fma_f16 v38, v92, v11, -v113
	v_add_f16_e32 v95, v101, v36
	v_add_f16_e32 v45, v101, v78
	v_sub_f16_e32 v87, v101, v78
	v_sub_f16_e32 v101, v47, v40
	v_add_f16_e32 v103, v47, v40
	v_add_f16_e32 v47, v93, v47
	v_fmac_f16_e32 v85, v7, v44
	v_fma_f16 v44, v0, v97, -v106
	v_fma_f16 v37, v1, v98, -v107
	v_add_f16_e32 v97, v102, v38
	v_sub_f16_e32 v98, v102, v38
	v_sub_f16_e32 v105, v46, v41
	v_add_f16_e32 v107, v46, v41
	v_add_f16_e32 v46, v47, v46
	;; [unrolled: 1-line block ×3, first 2 shown]
	v_sub_f16_e32 v88, v90, v79
	v_sub_f16_e32 v109, v44, v43
	v_add_f16_e32 v94, v44, v43
	v_add_f16_e32 v90, v95, v90
	v_mul_f16_e32 v95, 0xb770, v98
	v_mul_f16_e32 v96, 0x3b15, v97
	;; [unrolled: 1-line block ×9, first 2 shown]
	v_add_f16_e32 v44, v46, v44
	v_add_f16_e32 v102, v86, v80
	v_sub_f16_e32 v104, v86, v80
	v_mul_f16_e32 v115, 0xb5ac, v97
	v_mul_f16_e32 v117, 0xb9fd, v97
	;; [unrolled: 1-line block ×12, first 2 shown]
	v_fma_f16 v158, 0x3b15, v45, v95
	v_fma_f16 v159, 0x3770, v87, v96
	v_fma_f16 v95, v45, 0x3b15, -v95
	v_fmac_f16_e32 v96, 0xb770, v87
	v_fma_f16 v160, 0x388b, v45, v110
	v_fma_f16 v161, 0x3a95, v87, v111
	v_fma_f16 v110, v45, 0x388b, -v110
	v_fmac_f16_e32 v111, 0xba95, v87
	;; [unrolled: 4-line block ×3, first 2 shown]
	v_fma_f16 v164, 0xb5ac, v45, v114
	v_fma_f16 v114, v45, 0xb5ac, -v114
	v_fma_f16 v166, 0xb9fd, v45, v116
	v_fma_f16 v116, v45, 0xb9fd, -v116
	;; [unrolled: 2-line block ×3, first 2 shown]
	v_add_f16_e32 v86, v90, v86
	v_add_f16_e32 v44, v44, v37
	;; [unrolled: 1-line block ×3, first 2 shown]
	v_sub_f16_e32 v108, v85, v81
	v_mul_f16_e32 v126, 0xb9fd, v99
	v_mul_f16_e32 v127, 0x2fb7, v99
	;; [unrolled: 1-line block ×3, first 2 shown]
	v_mul_f16_e64 v128, 0xbbf1, v101
	v_mul_f16_e64 v129, 0xb3a8, v101
	;; [unrolled: 1-line block ×5, first 2 shown]
	v_mul_f16_e32 v101, 0xb94e, v101
	v_mul_f16_e64 v133, 0x2fb7, v103
	v_mul_f16_e64 v134, 0xbbc4, v103
	;; [unrolled: 1-line block ×3, first 2 shown]
	v_fma_f16 v165, 0x3b7b, v87, v115
	v_fmac_f16_e32 v115, 0xbb7b, v87
	v_fma_f16 v167, 0x394e, v87, v117
	v_fmac_f16_e32 v117, 0xb94e, v87
	v_fma_f16 v169, 0x33a8, v87, v97
	v_fmac_f16_e32 v97, 0xb3a8, v87
	v_fmamk_f16 v87, v89, 0x388b, v118
	v_fma_f16 v98, v89, 0x388b, -v118
	v_fmamk_f16 v118, v89, 0xb5ac, v120
	v_fma_f16 v120, v89, 0xb5ac, -v120
	v_fma_f16 v170, 0xbbc4, v89, v122
	v_fma_f16 v122, v89, 0xbbc4, -v122
	v_fma_f16 v171, 0xb9fd, v89, v124
	;; [unrolled: 2-line block ×4, first 2 shown]
	v_fma_f16 v89, v89, 0x3b15, -v100
	v_fmamk_f16 v100, v88, 0x3a95, v119
	v_fma_f16 v174, 0x3b7b, v88, v121
	v_fmac_f16_e32 v121, 0xbb7b, v88
	v_fma_f16 v175, 0x33a8, v88, v123
	v_fmac_f16_e32 v123, 0xb3a8, v88
	v_add_f16_e64 v158, v158, v36
	v_add_f16_e32 v95, v95, v36
	v_add_f16_e64 v160, v160, v36
	v_add_f16_e32 v110, v110, v36
	v_add_f16_e64 v162, v162, v36
	v_add_f16_e32 v112, v112, v36
	v_add_f16_e64 v164, v164, v36
	v_add_f16_e32 v114, v114, v36
	v_add_f16_e64 v166, v166, v36
	v_add_f16_e32 v116, v116, v36
	v_add_f16_e64 v168, v168, v36
	v_add_f16_e32 v36, v45, v36
	v_add_f16_e32 v45, v86, v85
	v_add_f16_e64 v47, v159, v84
	v_add_f16_e32 v85, v96, v84
	v_add_f16_e32 v96, v111, v84
	v_add_f16_e64 v111, v163, v84
	v_add_f16_e32 v113, v113, v84
	v_add_f16_e32 v44, v44, v42
	v_mul_f16_e64 v136, 0x3b15, v103
	v_mul_f16_e64 v137, 0x388b, v103
	v_mul_f16_e32 v103, 0xb9fd, v103
	v_mul_f16_e64 v138, 0xbb7b, v105
	v_mul_f16_e64 v139, 0x394e, v105
	v_mul_f16_e64 v140, 0x3770, v105
	v_mul_f16_e64 v141, 0xbbf1, v105
	v_mul_f16_e64 v142, 0x33a8, v105
	v_mul_f16_e32 v105, 0x3a95, v105
	v_mul_f16_e64 v143, 0xb5ac, v107
	v_mul_f16_e64 v145, 0x3b15, v107
	v_fmac_f16_e32 v119, 0xba95, v88
	v_fma_f16 v176, 0xb94e, v88, v126
	v_fmac_f16_e32 v126, 0x394e, v88
	v_fma_f16 v177, 0xbbf1, v88, v127
	;; [unrolled: 2-line block ×4, first 2 shown]
	v_fma_f16 v128, v102, 0x2fb7, -v128
	v_fma_f16 v179, 0xbbc4, v102, v129
	v_fma_f16 v129, v102, 0xbbc4, -v129
	v_fma_f16 v180, 0xb5ac, v102, v130
	;; [unrolled: 2-line block ×6, first 2 shown]
	v_fma_f16 v93, 0x33a8, v104, v134
	v_fmac_f16_e64 v134, 0xb3a8, v104
	v_fma_f16 v102, 0xbb7b, v104, v135
	v_fmac_f16_e64 v135, 0x3b7b, v104
	v_add_f16_e64 v86, v161, v84
	v_add_f16_e64 v159, v165, v84
	v_add_f16_e32 v115, v115, v84
	v_add_f16_e64 v161, v167, v84
	v_add_f16_e32 v117, v117, v84
	;; [unrolled: 2-line block ×4, first 2 shown]
	v_add_f16_e32 v95, v98, v95
	v_add_f16_e64 v97, v118, v160
	v_add_f16_e32 v98, v120, v110
	v_add_f16_e32 v96, v121, v96
	v_add_f16_e64 v110, v175, v111
	v_add_f16_e32 v111, v122, v112
	v_add_f16_e32 v112, v123, v113
	;; [unrolled: 1-line block ×5, first 2 shown]
	v_sub_f16_e32 v92, v83, v82
	v_mul_f16_e64 v144, 0xb9fd, v107
	v_mul_f16_e64 v146, 0x2fb7, v107
	;; [unrolled: 1-line block ×3, first 2 shown]
	v_mul_f16_e32 v107, 0x388b, v107
	v_mul_f16_e64 v148, 0xb94e, v109
	v_mul_f16_e64 v149, 0xb9fd, v94
	;; [unrolled: 1-line block ×4, first 2 shown]
	v_fmac_f16_e64 v133, 0xbbf1, v104
	v_fma_f16 v184, 0xb770, v104, v136
	v_fmac_f16_e64 v136, 0x3770, v104
	v_fma_f16 v185, 0x3a95, v104, v137
	;; [unrolled: 2-line block ×3, first 2 shown]
	v_fmac_f16_e32 v103, 0xb94e, v104
	v_fma_f16 v104, 0xb5ac, v106, v138
	v_fma_f16 v138, v106, 0xb5ac, -v138
	v_fma_f16 v187, 0xb9fd, v106, v139
	v_fma_f16 v139, v106, 0xb9fd, -v139
	;; [unrolled: 2-line block ×6, first 2 shown]
	v_fma_f16 v106, 0x3b7b, v108, v143
	v_fma_f16 v193, 0xb770, v108, v145
	v_fmac_f16_e64 v145, 0x3770, v108
	v_add_f16_e64 v100, v170, v162
	v_add_f16_e32 v114, v124, v114
	v_add_f16_e32 v115, v126, v115
	;; [unrolled: 1-line block ×5, first 2 shown]
	v_add_f16_e64 v83, v128, v95
	v_add_f16_e64 v87, v179, v97
	;; [unrolled: 1-line block ×4, first 2 shown]
	v_add_f16_e32 v45, v45, v76
	v_add_f16_e32 v41, v43, v41
	v_mul_f16_e64 v151, 0x2fb7, v94
	v_mul_f16_e64 v154, 0x33a8, v109
	v_mul_f16_e64 v155, 0xbbc4, v94
	v_fmac_f16_e64 v143, 0xbb7b, v108
	v_fma_f16 v192, 0xb94e, v108, v144
	v_fmac_f16_e64 v144, 0x394e, v108
	v_fma_f16 v194, 0x3bf1, v108, v146
	;; [unrolled: 2-line block ×4, first 2 shown]
	v_fmac_f16_e32 v107, 0x3a95, v108
	v_fma_f16 v108, 0xb9fd, v91, v148
	v_fma_f16 v197, 0x394e, v92, v149
	v_fma_f16 v148, v91, 0xb9fd, -v148
	v_fma_f16 v198, 0x2fb7, v91, v150
	v_fma_f16 v201, 0x3a95, v92, v153
	v_fmac_f16_e64 v153, 0xba95, v92
	v_add_f16_e64 v113, v171, v164
	v_add_f16_e32 v84, v99, v84
	v_add_f16_e64 v88, v129, v98
	v_add_f16_e64 v90, v180, v100
	v_add_f16_e64 v99, v131, v114
	v_add_f16_e64 v100, v136, v115
	v_add_f16_e32 v46, v104, v46
	v_add_f16_e32 v47, v106, v47
	v_add_f16_e64 v83, v138, v83
	v_add_f16_e64 v87, v187, v87
	v_add_f16_e64 v96, v145, v96
	v_add_f16_e32 v45, v45, v77
	v_add_f16_e32 v40, v41, v40
	v_mul_f16_e64 v152, 0xba95, v109
	v_fma_f16 v199, 0xbbf1, v92, v151
	v_fma_f16 v150, v91, 0x2fb7, -v150
	v_fmac_f16_e64 v151, 0x3bf1, v92
	v_fma_f16 v202, 0xbbc4, v91, v154
	v_fma_f16 v203, 0xb3a8, v92, v155
	v_fma_f16 v154, v91, 0xbbc4, -v154
	v_fmac_f16_e64 v155, 0x33a8, v92
	v_add_f16_e32 v85, v119, v85
	v_add_f16_e64 v95, v130, v111
	v_add_f16_e64 v97, v181, v113
	;; [unrolled: 1-line block ×6, first 2 shown]
	v_add_f16_e32 v45, v45, v82
	v_add_f16_e32 v44, v108, v46
	v_add_f16_e64 v46, v197, v47
	v_add_f16_e64 v47, v148, v83
	;; [unrolled: 1-line block ×4, first 2 shown]
	v_add_f16_e32 v39, v40, v39
	v_sub_f16_e32 v96, v37, v42
	v_mul_f16_e64 v157, 0x3b15, v94
	v_fma_f16 v200, 0x388b, v91, v152
	v_fma_f16 v152, v91, 0x388b, -v152
	v_add_f16_e64 v86, v174, v86
	v_add_f16_e64 v85, v133, v85
	v_add_f16_e32 v36, v101, v36
	v_add_f16_e32 v84, v103, v84
	v_add_f16_e64 v95, v140, v95
	v_add_f16_e64 v97, v189, v97
	v_add_f16_e32 v45, v45, v81
	v_add_f16_e64 v43, v150, v88
	v_add_f16_e64 v81, v151, v89
	;; [unrolled: 1-line block ×3, first 2 shown]
	v_add_f16_e32 v38, v39, v38
	v_add_f16_e64 v39, v155, v100
	v_mul_f16_e32 v89, 0xbb7b, v109
	v_mul_f16_e32 v94, 0xb5ac, v94
	v_add_f16_e32 v99, v76, v77
	v_mul_f16_e32 v100, 0xb3a8, v96
	v_add_f16_e32 v37, v37, v42
	v_fmac_f16_e64 v149, 0xb94e, v92
	v_add_f16_e32 v86, v93, v86
	v_add_f16_e64 v85, v143, v85
	v_add_f16_e32 v36, v105, v36
	v_add_f16_e32 v84, v107, v84
	;; [unrolled: 1-line block ×3, first 2 shown]
	v_add_f16_e64 v80, v152, v95
	v_add_f16_e64 v40, v202, v97
	v_fmamk_f16 v95, v91, 0xb5ac, v89
	v_fmamk_f16 v97, v92, 0x3b7b, v94
	v_fma_f16 v42, v91, 0xb5ac, -v89
	v_fmac_f16_e32 v94, 0xbb7b, v92
	v_fmamk_f16 v89, v99, 0xbbc4, v100
	v_sub_f16_e32 v76, v76, v77
	v_mul_f16_e32 v77, 0xbbc4, v37
	v_mul_f16_e64 v156, 0x3770, v109
	v_fma_f16 v205, 0xb770, v92, v157
	v_add_f16_e64 v86, v192, v86
	v_add_f16_e64 v90, v188, v90
	;; [unrolled: 1-line block ×3, first 2 shown]
	v_fmac_f16_e64 v157, 0x3770, v92
	v_add_f16_e32 v36, v42, v36
	v_add_f16_e32 v42, v94, v84
	;; [unrolled: 1-line block ×3, first 2 shown]
	v_mul_f16_e32 v84, 0x3770, v96
	v_fmamk_f16 v89, v76, 0x33a8, v77
	v_fmac_f16_e32 v77, 0xb3a8, v76
	v_mul_f16_e32 v92, 0x3b15, v37
	v_fma_f16 v204, 0x3b15, v91, v156
	v_add_f16_e64 v118, v176, v159
	v_add_f16_e32 v93, v102, v110
	v_add_f16_e64 v85, v199, v86
	v_add_f16_e64 v86, v200, v90
	v_fma_f16 v90, v91, 0x3b15, -v156
	v_fma_f16 v91, v99, 0xbbc4, -v100
	v_fmamk_f16 v94, v99, 0x3b15, v84
	v_add_f16_e32 v46, v89, v46
	v_add_f16_e32 v77, v77, v82
	v_fmamk_f16 v82, v76, 0xb770, v92
	v_fma_f16 v84, v99, 0x3b15, -v84
	v_mul_f16_e32 v89, 0xb94e, v96
	v_add_f16_e32 v116, v125, v116
	v_add_f16_e64 v98, v184, v118
	v_add_f16_e64 v93, v193, v93
	v_add_f16_e32 v47, v91, v47
	v_fmac_f16_e32 v92, 0x3770, v76
	v_add_f16_e32 v82, v82, v85
	v_mul_f16_e32 v85, 0xb9fd, v37
	v_add_f16_e32 v43, v84, v43
	v_fmamk_f16 v84, v99, 0xb9fd, v89
	v_mul_f16_e32 v91, 0x3a95, v96
	v_fma_f16 v89, v99, 0xb9fd, -v89
	v_add_f16_e64 v119, v172, v166
	v_add_f16_e64 v120, v177, v161
	;; [unrolled: 1-line block ×6, first 2 shown]
	v_add_f16_e32 v81, v92, v81
	v_fmamk_f16 v92, v76, 0x394e, v85
	v_add_f16_e32 v84, v84, v86
	v_fmamk_f16 v86, v99, 0x388b, v91
	v_add_f16_e32 v80, v89, v80
	v_mul_f16_e32 v89, 0x388b, v37
	v_add_f16_e64 v102, v182, v119
	v_add_f16_e64 v110, v185, v120
	;; [unrolled: 1-line block ×4, first 2 shown]
	v_add_f16_e32 v45, v45, v79
	v_add_f16_e64 v79, v203, v98
	v_fmac_f16_e32 v85, 0xb94e, v76
	v_add_f16_e32 v41, v92, v41
	v_add_f16_e32 v40, v86, v40
	v_mul_f16_e32 v86, 0xbb7b, v96
	v_fmamk_f16 v92, v76, 0xba95, v89
	v_fma_f16 v91, v99, 0x388b, -v91
	v_add_f16_e64 v122, v178, v163
	v_add_f16_e32 v117, v127, v117
	v_add_f16_e64 v101, v190, v102
	v_add_f16_e64 v102, v195, v110
	;; [unrolled: 1-line block ×3, first 2 shown]
	v_add_f16_e32 v90, v90, v103
	v_add_f16_e32 v83, v94, v83
	;; [unrolled: 1-line block ×3, first 2 shown]
	v_mul_f16_e32 v87, 0xb5ac, v37
	v_fmamk_f16 v94, v99, 0xb5ac, v86
	v_add_f16_e32 v79, v92, v79
	v_add_f16_e32 v88, v91, v88
	v_fma_f16 v86, v99, 0xb5ac, -v86
	v_mul_f16_e32 v91, 0x3bf1, v96
	v_lshrrev_b32_e32 v92, 2, v12
	v_add_f16_e64 v114, v186, v122
	v_add_f16_e64 v112, v137, v117
	;; [unrolled: 1-line block ×3, first 2 shown]
	v_add_f16_e32 v95, v95, v106
	v_fmac_f16_e32 v89, 0x3a95, v76
	v_fmamk_f16 v100, v76, 0x3b7b, v87
	v_mul_f16_e32 v37, 0x2fb7, v37
	v_add_f16_e32 v86, v86, v90
	v_fmamk_f16 v90, v99, 0x2fb7, v91
	v_mul_u32_u24_e32 v92, 52, v92
	v_add_f16_e64 v110, v196, v114
	v_add_f16_e64 v104, v147, v112
	v_add_f16_e32 v45, v45, v78
	v_add_f16_e64 v78, v204, v101
	v_add_f16_e32 v39, v89, v39
	v_add_f16_e32 v89, v100, v93
	v_fmac_f16_e32 v87, 0xbb7b, v76
	v_fmamk_f16 v93, v76, 0xbbf1, v37
	v_fmac_f16_e32 v37, 0x3bf1, v76
	v_add_f16_e32 v76, v90, v95
	v_or_b32_e32 v90, v92, v50
	v_add_f16_e32 v97, v97, v110
	v_fma_f16 v91, v99, 0x2fb7, -v91
	v_add_f16_e64 v98, v157, v104
	v_add_f16_e32 v78, v94, v78
	v_add_f16_e32 v37, v37, v42
	v_lshl_add_u32 v42, v90, 2, 0
	v_pack_b32_f16 v38, v45, v38
	v_pack_b32_f16 v44, v44, v46
	v_add_f16_e32 v92, v93, v97
	v_add_f16_e32 v36, v91, v36
	v_pack_b32_f16 v45, v83, v82
	v_pack_b32_f16 v41, v84, v41
	v_add_f16_e32 v87, v87, v98
	ds_store_2addr_b32 v42, v38, v44 offset1:4
	ds_store_2addr_b32 v42, v45, v41 offset0:8 offset1:12
	v_pack_b32_f16 v38, v40, v79
	v_pack_b32_f16 v40, v78, v89
	v_pack_b32_f16 v41, v76, v92
	v_pack_b32_f16 v36, v36, v37
	v_pack_b32_f16 v37, v86, v87
	v_pack_b32_f16 v39, v88, v39
	v_pack_b32_f16 v44, v80, v85
	v_pack_b32_f16 v43, v43, v81
	v_pack_b32_f16 v45, v47, v77
	ds_store_2addr_b32 v42, v38, v40 offset0:16 offset1:20
	ds_store_2addr_b32 v42, v41, v36 offset0:24 offset1:28
	;; [unrolled: 1-line block ×4, first 2 shown]
	ds_store_b32 v42, v45 offset:192
	s_and_saveexec_b32 s1, s0
	s_cbranch_execz .LBB0_29
; %bb.28:
	v_mul_f16_e32 v38, v60, v74
	v_mul_f16_e32 v36, v63, v75
	;; [unrolled: 1-line block ×5, first 2 shown]
	v_fmac_f16_e32 v38, v25, v4
	v_fmac_f16_e32 v36, v62, v11
	v_mul_f16_e32 v37, v61, v73
	v_fma_f16 v25, v63, v11, -v39
	v_fma_f16 v39, v60, v4, -v41
	v_mul_f16_e32 v42, v35, v73
	v_sub_f16_e32 v11, v38, v36
	v_fmac_f16_e32 v40, v32, v5
	v_fmac_f16_e32 v37, v35, v10
	v_mul_f16_e32 v43, v32, v72
	v_add_f16_e32 v47, v39, v25
	v_mul_f16_e32 v46, 0xb94e, v11
	v_mul_f16_e32 v35, v59, v71
	v_sub_f16_e32 v4, v40, v37
	v_fma_f16 v32, v61, v10, -v42
	v_fma_f16 v42, v58, v5, -v43
	v_mul_f16_e32 v41, v56, v70
	v_fmamk_f16 v44, v47, 0xb9fd, v46
	v_fmac_f16_e32 v35, v34, v9
	v_mul_f16_e32 v10, v34, v71
	v_mul_f16_e32 v34, v33, v70
	;; [unrolled: 1-line block ×3, first 2 shown]
	v_add_f16_e32 v60, v42, v32
	v_fmac_f16_e32 v41, v33, v6
	v_fma_f16 v33, v59, v9, -v10
	v_fma_f16 v43, v56, v6, -v34
	v_add_f16_e32 v6, v49, v44
	v_fmamk_f16 v9, v60, 0x2fb7, v58
	v_mul_f16_e32 v45, v55, v68
	v_mul_f16_e32 v34, v57, v69
	v_sub_f16_e32 v5, v41, v35
	v_mul_f16_e32 v62, v54, v66
	v_add_f16_e32 v10, v9, v6
	v_fmac_f16_e32 v45, v28, v7
	v_fmac_f16_e32 v34, v31, v8
	v_mul_f16_e32 v6, v31, v69
	v_mul_f16_e32 v28, v28, v68
	;; [unrolled: 1-line block ×4, first 2 shown]
	v_add_f16_e32 v59, v43, v33
	v_sub_f16_e32 v9, v45, v34
	v_fma_f16 v31, v57, v8, -v6
	v_fma_f16 v55, v55, v7, -v28
	v_fmac_f16_e32 v62, v29, v0
	v_fmac_f16_e32 v44, v30, v3
	v_mul_f16_e32 v7, v30, v67
	v_mul_f16_e32 v8, v29, v66
	v_fmamk_f16 v61, v59, 0x388b, v56
	v_mul_f16_e32 v57, 0x33a8, v9
	v_add_f16_e32 v63, v55, v31
	v_sub_f16_e32 v6, v62, v44
	v_fma_f16 v30, v52, v3, -v7
	v_fma_f16 v52, v54, v0, -v8
	v_add_f16_e32 v0, v61, v10
	v_fmamk_f16 v3, v63, 0xbbc4, v57
	v_mul_f16_e32 v54, 0x3770, v6
	v_mul_f16_e32 v66, v53, v64
	v_add_f16_e32 v61, v52, v30
	v_mul_f16_e32 v67, v51, v65
	v_add_f16_e32 v0, v3, v0
	v_sub_f16_e32 v68, v39, v25
	v_fmac_f16_e32 v66, v26, v1
	v_fmamk_f16 v3, v61, 0x3b15, v54
	v_fmac_f16_e32 v67, v27, v2
	v_sub_f16_e32 v70, v42, v32
	v_mul_f16_e32 v69, 0xb94e, v68
	v_mul_f16_e32 v8, v27, v65
	v_add_f16_e32 v10, v3, v0
	v_add_f16_e32 v3, v38, v36
	v_mul_f16_e32 v26, v26, v64
	v_sub_f16_e32 v0, v66, v67
	v_add_f16_e32 v7, v40, v37
	v_mul_f16_e32 v64, 0x3bf1, v70
	v_fma_f16 v27, v3, 0xb9fd, -v69
	v_fma_f16 v51, v51, v2, -v8
	v_sub_f16_e32 v65, v43, v33
	v_fma_f16 v53, v53, v1, -v26
	v_fma_f16 v2, v7, 0x2fb7, -v64
	v_add_f16_e32 v1, v24, v27
	v_add_f16_e32 v8, v41, v35
	v_mul_f16_e32 v71, 0xba95, v65
	v_mul_f16_e32 v72, 0xbb7b, v0
	v_sub_f16_e32 v73, v55, v31
	v_add_f16_e32 v74, v53, v51
	v_add_f16_e32 v1, v2, v1
	v_fma_f16 v26, v8, 0x388b, -v71
	v_add_f16_e32 v2, v45, v34
	v_mul_f16_e32 v75, 0x33a8, v73
	v_fmamk_f16 v27, v74, 0xb5ac, v72
	v_sub_f16_e32 v76, v52, v30
	v_add_f16_e32 v26, v26, v1
	v_mul_f16_e32 v29, 0xb3a8, v11
	v_fma_f16 v28, v2, 0xbbc4, -v75
	v_add_f16_e32 v1, v27, v10
	v_add_f16_e32 v10, v62, v44
	v_mul_f16_e32 v77, 0x3770, v76
	v_sub_f16_e32 v78, v53, v51
	v_add_f16_e32 v27, v28, v26
	v_fmamk_f16 v28, v47, 0xbbc4, v29
	v_mul_f16_e32 v79, 0x3770, v4
	v_fma_f16 v80, v10, 0x3b15, -v77
	v_add_f16_e32 v26, v66, v67
	v_mul_f16_e32 v81, 0xbb7b, v78
	v_add_f16_e32 v28, v49, v28
	v_fmamk_f16 v82, v60, 0x3b15, v79
	v_mul_f16_e32 v83, 0xb94e, v5
	v_add_f16_e32 v27, v80, v27
	v_fma_f16 v80, v26, 0xb5ac, -v81
	v_mul_f16_e32 v84, 0xb3a8, v68
	v_add_f16_e32 v28, v82, v28
	v_fmamk_f16 v82, v59, 0xb9fd, v83
	v_mul_f16_e32 v85, 0x3a95, v9
	v_add_f16_e32 v27, v80, v27
	v_fma_f16 v80, v3, 0xbbc4, -v84
	;; [unrolled: 6-line block ×4, first 2 shown]
	v_mul_f16_e32 v91, 0x3a95, v73
	v_fma_f16 v46, v47, 0xb9fd, -v46
	v_add_f16_e32 v28, v82, v28
	v_fmamk_f16 v82, v74, 0x2fb7, v90
	v_fma_f16 v29, v47, 0xbbc4, -v29
	v_add_f16_e32 v80, v88, v80
	v_fma_f16 v88, v2, 0x388b, -v91
	v_mul_f16_e32 v92, 0xbb7b, v76
	v_add_f16_e32 v46, v49, v46
	v_fma_f16 v58, v60, 0x2fb7, -v58
	v_add_f16_e32 v28, v82, v28
	v_add_f16_e32 v29, v49, v29
	v_fma_f16 v79, v60, 0x3b15, -v79
	v_add_f16_e32 v80, v88, v80
	v_fma_f16 v82, v10, 0xb5ac, -v92
	v_mul_f16_e32 v88, 0x3bf1, v78
	v_fmac_f16_e32 v84, 0xbbc4, v3
	v_add_f16_e32 v58, v58, v46
	v_fma_f16 v56, v59, 0x388b, -v56
	v_fmac_f16_e32 v69, 0xb9fd, v3
	v_add_f16_e32 v29, v79, v29
	v_fma_f16 v79, v59, 0xb9fd, -v83
	v_add_f16_e32 v80, v82, v80
	v_fma_f16 v82, v26, 0x2fb7, -v88
	v_add_f16_e32 v83, v24, v84
	v_fmac_f16_e32 v86, 0x3b15, v7
	v_add_f16_e32 v56, v56, v58
	v_fma_f16 v57, v63, 0xbbc4, -v57
	v_add_f16_e32 v69, v24, v69
	v_fmac_f16_e32 v64, 0x2fb7, v7
	v_add_f16_e32 v79, v79, v29
	v_fma_f16 v84, v63, 0x388b, -v85
	v_add_f16_e32 v29, v82, v80
	v_add_f16_e32 v80, v86, v83
	v_fmac_f16_e32 v89, 0xb9fd, v8
	v_add_f16_e32 v56, v57, v56
	v_fma_f16 v54, v61, 0x3b15, -v54
	v_add_f16_e32 v64, v64, v69
	v_fmac_f16_e32 v71, 0x388b, v8
	v_add_f16_e32 v79, v84, v79
	v_fma_f16 v82, v61, 0xb5ac, -v87
	v_add_f16_e32 v80, v89, v80
	v_fmac_f16_e32 v91, 0x388b, v2
	v_add_f16_e32 v54, v54, v56
	v_add_f16_e32 v56, v71, v64
	v_fmac_f16_e32 v75, 0xbbc4, v2
	v_fma_f16 v72, v74, 0xb5ac, -v72
	v_add_f16_e32 v79, v82, v79
	v_fma_f16 v82, v74, 0x2fb7, -v90
	v_add_f16_e32 v80, v91, v80
	v_fmac_f16_e32 v92, 0xb5ac, v10
	v_mul_f16_e32 v57, 0xb5ac, v47
	v_add_f16_e32 v56, v75, v56
	v_fmac_f16_e32 v77, 0x3b15, v10
	v_add_f16_e32 v54, v72, v54
	v_mul_f16_e32 v72, 0xbb7b, v68
	v_add_f16_e32 v46, v82, v79
	v_add_f16_e32 v58, v92, v80
	v_fmamk_f16 v69, v11, 0x3b7b, v57
	v_mul_f16_e32 v79, 0xb9fd, v60
	v_add_f16_e32 v56, v77, v56
	v_fmac_f16_e32 v81, 0xb5ac, v26
	v_fmamk_f16 v80, v3, 0xb5ac, v72
	v_mul_f16_e32 v82, 0x394e, v70
	v_add_f16_e32 v64, v49, v69
	v_fmamk_f16 v69, v4, 0xb94e, v79
	v_mul_f16_e32 v71, 0x3b15, v59
	v_add_f16_e32 v56, v81, v56
	v_add_f16_e32 v80, v24, v80
	v_fmamk_f16 v81, v7, 0xb9fd, v82
	v_mul_f16_e32 v83, 0x3770, v65
	v_add_f16_e32 v64, v69, v64
	v_fmamk_f16 v69, v5, 0xb770, v71
	v_mul_f16_e32 v75, 0x2fb7, v63
	;; [unrolled: 3-line block ×5, first 2 shown]
	v_fmac_f16_e32 v88, 0x2fb7, v26
	v_add_f16_e32 v64, v69, v64
	v_fmamk_f16 v69, v6, 0xb3a8, v77
	v_mul_f16_e32 v84, 0x2fb7, v47
	v_add_f16_e32 v80, v81, v80
	v_fmamk_f16 v81, v10, 0xbbc4, v89
	v_add_f16_e32 v58, v88, v58
	v_add_f16_e32 v64, v69, v64
	v_mul_f16_e32 v69, 0x388b, v74
	v_fmamk_f16 v87, v11, 0x3bf1, v84
	v_mul_f16_e32 v88, 0xbbc4, v60
	v_add_f16_e32 v80, v81, v80
	v_mul_f16_e32 v81, 0x3a95, v78
	v_mul_f16_e32 v92, 0xbbf1, v68
	v_fmamk_f16 v86, v0, 0xba95, v69
	v_add_f16_e32 v87, v49, v87
	v_fmamk_f16 v90, v4, 0x33a8, v88
	v_mul_f16_e32 v91, 0xb5ac, v59
	v_fmamk_f16 v94, v26, 0x388b, v81
	v_fmamk_f16 v95, v3, 0x2fb7, v92
	v_mul_f16_e32 v96, 0xb3a8, v70
	v_add_f16_e32 v64, v86, v64
	v_add_f16_e32 v86, v90, v87
	v_fmamk_f16 v87, v5, 0xbb7b, v91
	v_mul_f16_e32 v90, 0x3b15, v63
	v_add_f16_e32 v80, v94, v80
	v_add_f16_e32 v94, v24, v95
	v_fmamk_f16 v95, v7, 0xbbc4, v96
	v_mul_f16_e32 v97, 0x3b7b, v65
	v_add_f16_e32 v86, v87, v86
	v_fmamk_f16 v87, v9, 0xb770, v90
	v_mul_f16_e32 v93, 0x388b, v61
	;; [unrolled: 3-line block ×5, first 2 shown]
	v_add_f16_e32 v86, v87, v86
	v_mul_f16_e32 v87, 0xb9fd, v74
	v_fmamk_f16 v101, v11, 0x3a95, v98
	v_mul_f16_e32 v102, 0xb5ac, v60
	v_add_f16_e32 v94, v95, v94
	v_fmamk_f16 v95, v10, 0x388b, v103
	v_fmamk_f16 v100, v0, 0x394e, v87
	v_add_f16_e32 v101, v49, v101
	v_fmamk_f16 v104, v4, 0x3b7b, v102
	v_mul_f16_e32 v105, 0xbbc4, v59
	v_add_f16_e32 v94, v95, v94
	v_mul_f16_e32 v95, 0xb94e, v78
	v_mul_f16_e32 v106, 0xba95, v68
	v_add_f16_e32 v86, v100, v86
	v_add_f16_e32 v100, v104, v101
	v_fmamk_f16 v101, v5, 0x33a8, v105
	v_mul_f16_e32 v104, 0xb9fd, v63
	v_fmamk_f16 v108, v26, 0xb9fd, v95
	v_fmamk_f16 v109, v3, 0x388b, v106
	v_mul_f16_e32 v110, 0xbb7b, v70
	v_add_f16_e32 v100, v101, v100
	v_fmamk_f16 v101, v9, 0xb94e, v104
	v_mul_f16_e32 v107, 0x2fb7, v61
	v_add_f16_e32 v94, v108, v94
	v_add_f16_e32 v108, v24, v109
	v_fmamk_f16 v109, v7, 0xb5ac, v110
	v_mul_f16_e32 v111, 0xb3a8, v65
	v_mul_f16_e32 v47, 0x3b15, v47
	v_add_f16_e32 v100, v101, v100
	v_fmamk_f16 v101, v6, 0xbbf1, v107
	v_add_f16_e32 v108, v109, v108
	v_fmamk_f16 v109, v8, 0xbbc4, v111
	v_mul_f16_e32 v112, 0x394e, v73
	v_fmamk_f16 v114, v11, 0x3770, v47
	v_mul_f16_e32 v60, 0x388b, v60
	v_add_f16_e32 v100, v101, v100
	v_mul_f16_e32 v101, 0x3b15, v74
	v_add_f16_e32 v108, v109, v108
	v_fmamk_f16 v109, v2, 0xb9fd, v112
	v_mul_f16_e32 v115, 0x3bf1, v76
	v_add_f16_e32 v114, v49, v114
	v_fmamk_f16 v116, v4, 0x3a95, v60
	v_mul_f16_e32 v59, 0x2fb7, v59
	v_add_f16_e32 v38, v24, v38
	v_fmamk_f16 v113, v0, 0xb770, v101
	v_add_f16_e32 v108, v109, v108
	v_fmamk_f16 v109, v10, 0x2fb7, v115
	v_mul_f16_e32 v117, 0x3770, v78
	v_add_f16_e32 v114, v116, v114
	v_fmamk_f16 v116, v5, 0x3bf1, v59
	v_mul_f16_e32 v63, 0xb5ac, v63
	v_add_f16_e32 v38, v38, v40
	v_add_f16_e32 v39, v49, v39
	;; [unrolled: 1-line block ×4, first 2 shown]
	v_fmamk_f16 v109, v26, 0x3b15, v117
	v_add_f16_e32 v113, v116, v114
	v_fmamk_f16 v114, v9, 0x3b7b, v63
	v_mul_f16_e32 v61, 0xb9fd, v61
	v_mul_f16_e32 v68, 0xb770, v68
	v_add_f16_e32 v38, v38, v41
	v_add_f16_e32 v39, v39, v42
	;; [unrolled: 1-line block ×4, first 2 shown]
	v_fmamk_f16 v113, v6, 0x394e, v61
	v_fmamk_f16 v114, v3, 0x3b15, v68
	v_mul_f16_e32 v40, 0xba95, v70
	v_add_f16_e32 v38, v38, v45
	v_add_f16_e32 v39, v39, v43
	;; [unrolled: 1-line block ×4, first 2 shown]
	v_fmamk_f16 v41, v7, 0x388b, v40
	v_mul_f16_e32 v42, 0xbbf1, v65
	v_mul_f16_e32 v65, 0xbbc4, v74
	v_add_f16_e32 v38, v38, v62
	v_add_f16_e32 v39, v39, v55
	;; [unrolled: 1-line block ×3, first 2 shown]
	v_fmamk_f16 v43, v8, 0x2fb7, v42
	v_mul_f16_e32 v45, 0xbb7b, v73
	v_fmamk_f16 v55, v0, 0x33a8, v65
	v_add_f16_e32 v38, v38, v66
	v_add_f16_e32 v39, v39, v52
	;; [unrolled: 1-line block ×3, first 2 shown]
	v_fmamk_f16 v43, v2, 0xb5ac, v45
	v_add_f16_e32 v52, v55, v70
	v_mul_f16_e32 v55, 0xb94e, v76
	v_add_f16_e32 v38, v38, v67
	v_add_f16_e32 v39, v39, v53
	v_fmac_f16_e32 v57, 0xbb7b, v11
	v_add_f16_e32 v41, v43, v41
	v_fmamk_f16 v43, v10, 0xb9fd, v55
	v_mul_f16_e32 v53, 0xb3a8, v78
	v_add_f16_e32 v38, v38, v44
	v_add_f16_e32 v39, v39, v51
	;; [unrolled: 1-line block ×3, first 2 shown]
	v_fmac_f16_e32 v79, 0x394e, v4
	v_add_f16_e32 v41, v43, v41
	v_fmamk_f16 v43, v26, 0xbbc4, v53
	v_add_f16_e32 v34, v38, v34
	v_add_f16_e32 v30, v39, v30
	;; [unrolled: 1-line block ×3, first 2 shown]
	v_fmac_f16_e32 v71, 0x3770, v5
	v_add_f16_e32 v39, v43, v41
	v_fma_f16 v41, v3, 0xb5ac, -v72
	v_add_f16_e32 v30, v30, v31
	v_fmac_f16_e32 v75, 0xbbf1, v9
	v_add_f16_e32 v31, v71, v38
	v_add_f16_e32 v34, v34, v35
	;; [unrolled: 1-line block ×3, first 2 shown]
	v_fma_f16 v38, v7, 0xb9fd, -v82
	v_add_f16_e32 v30, v30, v33
	v_add_f16_e32 v31, v75, v31
	v_fmac_f16_e32 v77, 0x33a8, v6
	v_fmac_f16_e32 v69, 0x3a95, v0
	v_add_f16_e32 v33, v38, v35
	v_fma_f16 v35, v8, 0x3b15, -v83
	v_add_f16_e32 v30, v30, v32
	v_add_f16_e32 v31, v77, v31
	;; [unrolled: 1-line block ×3, first 2 shown]
	v_fmac_f16_e32 v84, 0xbbf1, v11
	v_add_f16_e32 v32, v35, v33
	v_fma_f16 v33, v2, 0x2fb7, -v85
	v_add_f16_e32 v25, v30, v25
	v_add_f16_e32 v30, v69, v31
	v_fma_f16 v31, v3, 0x2fb7, -v92
	v_add_f16_e32 v34, v34, v36
	v_add_f16_e32 v32, v33, v32
	v_fma_f16 v33, v10, 0xbbc4, -v89
	v_add_f16_e32 v35, v49, v84
	v_fmac_f16_e32 v88, 0xb3a8, v4
	v_add_f16_e32 v31, v24, v31
	v_fma_f16 v36, v7, 0xbbc4, -v96
	v_add_f16_e32 v32, v33, v32
	v_fma_f16 v33, v26, 0x388b, -v81
	v_add_f16_e32 v35, v88, v35
	v_fmac_f16_e32 v91, 0x3b7b, v5
	v_add_f16_e32 v31, v36, v31
	v_fma_f16 v36, v8, 0xb5ac, -v97
	v_fmac_f16_e32 v98, 0xba95, v11
	v_add_f16_e32 v32, v33, v32
	v_add_f16_e32 v33, v91, v35
	v_fma_f16 v35, v2, 0x3b15, -v99
	v_add_f16_e32 v31, v36, v31
	v_add_f16_e32 v36, v49, v98
	v_fmac_f16_e32 v102, 0xbb7b, v4
	v_fmac_f16_e32 v105, 0xb3a8, v5
	v_fma_f16 v37, v3, 0x388b, -v106
	v_add_f16_e32 v31, v35, v31
	v_fma_f16 v35, v10, 0x388b, -v103
	v_add_f16_e32 v36, v102, v36
	v_fmac_f16_e32 v104, 0x394e, v9
	v_add_f16_e32 v37, v24, v37
	v_fma_f16 v38, v7, 0xb5ac, -v110
	v_add_f16_e32 v31, v35, v31
	v_add_f16_e32 v35, v105, v36
	v_fma_f16 v36, v26, 0xb9fd, -v95
	v_fmac_f16_e32 v107, 0x3bf1, v6
	v_fmac_f16_e32 v47, 0xb770, v11
	v_fma_f16 v3, v3, 0x3b15, -v68
	v_add_f16_e32 v35, v104, v35
	v_add_f16_e32 v31, v36, v31
	;; [unrolled: 1-line block ×3, first 2 shown]
	v_fma_f16 v37, v8, 0xbbc4, -v111
	v_fmac_f16_e32 v60, 0xba95, v4
	v_add_f16_e32 v11, v107, v35
	v_add_f16_e32 v3, v24, v3
	v_fma_f16 v7, v7, 0x388b, -v40
	v_add_f16_e32 v35, v37, v36
	v_add_f16_e32 v36, v49, v47
	v_fma_f16 v4, v2, 0xb9fd, -v112
	v_fmac_f16_e32 v59, 0xbbf1, v5
	v_add_f16_e32 v3, v7, v3
	v_fma_f16 v5, v8, 0x2fb7, -v42
	v_add_f16_e32 v24, v60, v36
	v_fmac_f16_e32 v90, 0x3770, v9
	v_add_f16_e32 v4, v4, v35
	v_fma_f16 v7, v10, 0x2fb7, -v115
	v_fmac_f16_e32 v63, 0xbb7b, v9
	v_lshrrev_b32_e32 v9, 2, v17
	v_add_f16_e32 v8, v59, v24
	v_add_f16_e32 v3, v5, v3
	v_fma_f16 v2, v2, 0xb5ac, -v45
	v_add_f16_e32 v4, v7, v4
	v_mul_u32_u24_e32 v7, 52, v9
	v_add_f16_e32 v33, v90, v33
	v_fmac_f16_e32 v93, 0xba95, v6
	v_add_f16_e32 v5, v63, v8
	v_fmac_f16_e32 v61, 0xb94e, v6
	v_add_f16_e32 v2, v2, v3
	v_fma_f16 v3, v10, 0xb9fd, -v55
	v_or_b32_e32 v7, v7, v50
	v_add_f16_e32 v33, v93, v33
	v_fmac_f16_e32 v87, 0xb94e, v0
	v_fmac_f16_e32 v101, 0x3770, v0
	v_fma_f16 v6, v26, 0x3b15, -v117
	v_add_f16_e32 v5, v61, v5
	v_fmac_f16_e32 v65, 0xb3a8, v0
	v_add_f16_e32 v0, v3, v2
	v_fma_f16 v2, v26, 0xbbc4, -v53
	v_lshl_add_u32 v3, v7, 2, 0
	v_pack_b32_f16 v7, v34, v25
	v_pack_b32_f16 v8, v39, v52
	;; [unrolled: 1-line block ×4, first 2 shown]
	v_add_f16_e32 v33, v87, v33
	v_add_f16_e32 v11, v101, v11
	;; [unrolled: 1-line block ×5, first 2 shown]
	v_pack_b32_f16 v2, v80, v64
	v_pack_b32_f16 v6, v56, v54
	ds_store_2addr_b32 v3, v7, v8 offset1:4
	ds_store_2addr_b32 v3, v9, v10 offset0:8 offset1:12
	v_pack_b32_f16 v7, v58, v46
	v_pack_b32_f16 v8, v29, v28
	;; [unrolled: 1-line block ×7, first 2 shown]
	ds_store_2addr_b32 v3, v2, v6 offset0:16 offset1:20
	ds_store_2addr_b32 v3, v7, v8 offset0:24 offset1:28
	;; [unrolled: 1-line block ×4, first 2 shown]
	ds_store_b32 v3, v0 offset:192
.LBB0_29:
	s_wait_alu 0xfffe
	s_or_b32 exec_lo, exec_lo, s1
	v_mul_u32_u24_e32 v0, 6, v12
	global_wb scope:SCOPE_SE
	s_wait_dscnt 0x0
	s_barrier_signal -1
	s_barrier_wait -1
	global_inv scope:SCOPE_SE
	v_dual_mov_b32 v17, 0 :: v_dual_lshlrev_b32 v0, 2, v0
	v_add_nc_u32_e32 v40, 0xa00, v48
	v_add_nc_u32_e32 v38, 0xc00, v48
	;; [unrolled: 1-line block ×3, first 2 shown]
	s_clause 0x1
	global_load_b128 v[4:7], v0, s[4:5] offset:200
	global_load_b64 v[36:37], v0, s[4:5] offset:216
	v_and_b32_e32 v0, 0xff, v13
	v_add_nc_u32_e32 v39, 0x400, v48
	s_delay_alu instid0(VALU_DEP_2) | instskip(NEXT) | instid1(VALU_DEP_1)
	v_mul_lo_u16 v0, 0x4f, v0
	v_lshrrev_b16 v0, 12, v0
	s_delay_alu instid0(VALU_DEP_1) | instskip(NEXT) | instid1(VALU_DEP_1)
	v_mul_lo_u16 v0, v0, 52
	v_sub_nc_u16 v0, v13, v0
	v_add_nc_u32_e32 v13, 0x800, v48
	s_delay_alu instid0(VALU_DEP_2) | instskip(NEXT) | instid1(VALU_DEP_1)
	v_and_b32_e32 v47, 0xff, v0
	v_mul_u32_u24_e32 v0, 6, v47
	s_delay_alu instid0(VALU_DEP_1)
	v_lshlrev_b32_e32 v8, 2, v0
	s_clause 0x1
	global_load_b128 v[0:3], v8, s[4:5] offset:200
	global_load_b64 v[10:11], v8, s[4:5] offset:216
	ds_load_2addr_b32 v[34:35], v48 offset1:52
	ds_load_2addr_b32 v[8:9], v48 offset0:104 offset1:156
	ds_load_b32 v42, v48 offset:4160
	ds_load_2addr_b32 v[43:44], v13 offset0:112 offset1:164
	ds_load_2addr_b32 v[24:25], v40 offset0:88 offset1:140
	;; [unrolled: 1-line block ×8, first 2 shown]
	global_wb scope:SCOPE_SE
	s_wait_loadcnt_dscnt 0x0
	s_barrier_signal -1
	s_barrier_wait -1
	global_inv scope:SCOPE_SE
	v_lshrrev_b32_e32 v56, 16, v43
	v_lshrrev_b32_e32 v57, 16, v25
	v_lshrrev_b32_e32 v58, 16, v45
	v_lshrrev_b32_e32 v59, 16, v30
	v_lshrrev_b32_e32 v60, 16, v50
	v_lshrrev_b32_e32 v52, 16, v9
	v_lshrrev_b32_e32 v61, 16, v28
	v_lshrrev_b32_e32 v63, 16, v26
	v_lshrrev_b32_e32 v64, 16, v46
	v_lshrrev_b32_e32 v70, 16, v49
	v_lshrrev_b32_e32 v71, 16, v33
	v_lshrrev_b32_e32 v62, 16, v44
	v_lshrrev_b32_e32 v53, 16, v34
	v_lshrrev_b32_e32 v54, 16, v35
	v_lshrrev_b32_e32 v51, 16, v42
	v_lshrrev_b32_e32 v65, 16, v31
	v_lshrrev_b32_e32 v66, 16, v32
	v_lshrrev_b32_e32 v67, 16, v29
	v_lshrrev_b32_e32 v68, 16, v24
	v_lshrrev_b32_e32 v69, 16, v27
	v_lshrrev_b32_e32 v55, 16, v8
	v_lshrrev_b32_e32 v74, 16, v4
	v_lshrrev_b32_e32 v75, 16, v5
	v_lshrrev_b32_e32 v76, 16, v6
	v_lshrrev_b32_e32 v77, 16, v7
	v_lshrrev_b32_e32 v78, 16, v36
	v_lshrrev_b32_e32 v79, 16, v37
	v_mul_f16_e32 v80, v74, v52
	v_mul_f16_e32 v81, v74, v9
	;; [unrolled: 1-line block ×24, first 2 shown]
	v_fmac_f16_e32 v80, v4, v9
	v_fma_f16 v9, v4, v52, -v81
	v_fmac_f16_e32 v82, v5, v49
	v_fma_f16 v49, v5, v70, -v83
	;; [unrolled: 2-line block ×8, first 2 shown]
	v_fmac_f16_e32 v94, v28, v6
	v_fmac_f16_e32 v96, v26, v36
	v_fma_f16 v26, v63, v36, -v78
	v_fmac_f16_e32 v97, v46, v37
	v_fma_f16 v28, v64, v37, -v79
	v_fma_f16 v6, v61, v6, -v76
	v_fmac_f16_e32 v95, v44, v7
	v_fma_f16 v7, v62, v7, -v77
	v_add_f16_e32 v30, v80, v90
	v_add_f16_e32 v36, v9, v45
	v_sub_f16_e32 v9, v9, v45
	v_add_f16_e32 v44, v82, v88
	v_add_f16_e32 v45, v49, v25
	v_sub_f16_e32 v25, v49, v25
	v_add_f16_e32 v50, v33, v43
	v_sub_f16_e32 v33, v43, v33
	v_add_f16_e32 v43, v92, v97
	v_add_f16_e32 v56, v4, v28
	v_sub_f16_e32 v4, v4, v28
	v_add_f16_e32 v28, v93, v96
	v_add_f16_e32 v58, v5, v26
	v_sub_f16_e32 v37, v80, v90
	v_sub_f16_e32 v46, v82, v88
	v_add_f16_e32 v49, v84, v86
	v_sub_f16_e32 v52, v86, v84
	v_sub_f16_e32 v57, v92, v97
	;; [unrolled: 1-line block ×4, first 2 shown]
	v_add_f16_e32 v26, v94, v95
	v_add_f16_e32 v60, v6, v7
	v_sub_f16_e32 v61, v95, v94
	v_sub_f16_e32 v6, v7, v6
	v_add_f16_e32 v7, v44, v30
	v_add_f16_e32 v62, v45, v36
	v_sub_f16_e32 v64, v45, v36
	v_sub_f16_e32 v36, v36, v50
	;; [unrolled: 1-line block ×3, first 2 shown]
	v_add_f16_e32 v71, v33, v25
	v_sub_f16_e32 v75, v33, v25
	v_sub_f16_e32 v25, v25, v9
	v_add_f16_e32 v76, v28, v43
	v_add_f16_e32 v77, v58, v56
	v_sub_f16_e32 v63, v44, v30
	v_sub_f16_e32 v30, v30, v49
	;; [unrolled: 1-line block ×3, first 2 shown]
	v_add_f16_e32 v70, v52, v46
	v_sub_f16_e32 v74, v52, v46
	v_sub_f16_e32 v33, v9, v33
	;; [unrolled: 1-line block ×9, first 2 shown]
	v_add_f16_e32 v80, v61, v59
	v_add_f16_e32 v81, v6, v5
	v_sub_f16_e32 v82, v61, v59
	v_sub_f16_e32 v83, v6, v5
	;; [unrolled: 1-line block ×4, first 2 shown]
	v_add_f16_e32 v7, v49, v7
	v_add_f16_e32 v49, v50, v62
	;; [unrolled: 1-line block ×3, first 2 shown]
	v_mul_f16_e32 v36, 0x3a52, v36
	v_mul_f16_e32 v62, 0x2b26, v45
	;; [unrolled: 1-line block ×4, first 2 shown]
	v_add_f16_e32 v26, v26, v76
	v_add_f16_e32 v60, v60, v77
	v_sub_f16_e32 v52, v37, v52
	v_sub_f16_e32 v61, v57, v61
	;; [unrolled: 1-line block ×3, first 2 shown]
	v_add_f16_e32 v37, v70, v37
	v_mul_f16_e32 v30, 0x3a52, v30
	v_mul_f16_e32 v50, 0x2b26, v44
	;; [unrolled: 1-line block ×4, first 2 shown]
	v_add_f16_e32 v57, v80, v57
	v_add_f16_e32 v4, v81, v4
	v_mul_f16_e32 v43, 0x3a52, v43
	v_mul_f16_e32 v56, 0x3a52, v56
	;; [unrolled: 1-line block ×8, first 2 shown]
	v_lshrrev_b32_e32 v84, 16, v0
	v_lshrrev_b32_e32 v85, 16, v1
	;; [unrolled: 1-line block ×6, first 2 shown]
	v_add_f16_e32 v34, v7, v34
	v_add_f16_e32 v53, v49, v53
	v_fmamk_f16 v45, v45, 0x2b26, v36
	v_fma_f16 v62, v64, 0x39e0, -v62
	v_fma_f16 v36, v64, 0xb9e0, -v36
	v_fmamk_f16 v64, v33, 0xb574, v71
	v_fma_f16 v25, v25, 0xbb00, -v71
	v_fma_f16 v33, v33, 0x3574, -v75
	v_add_f16_e32 v35, v26, v35
	v_add_f16_e32 v54, v60, v54
	v_fmamk_f16 v44, v44, 0x2b26, v30
	v_fma_f16 v50, v63, 0x39e0, -v50
	v_fma_f16 v30, v63, 0xb9e0, -v30
	v_fmamk_f16 v63, v52, 0xb574, v70
	v_fma_f16 v46, v46, 0xbb00, -v70
	v_fma_f16 v52, v52, 0x3574, -v74
	v_fmamk_f16 v28, v28, 0x2b26, v43
	v_fmamk_f16 v58, v58, 0x2b26, v56
	v_fma_f16 v70, v78, 0x39e0, -v76
	v_fma_f16 v71, v79, 0x39e0, -v77
	;; [unrolled: 1-line block ×4, first 2 shown]
	v_fmamk_f16 v74, v61, 0xb574, v80
	v_fmamk_f16 v75, v6, 0xb574, v81
	v_fma_f16 v59, v59, 0xbb00, -v80
	v_fma_f16 v5, v5, 0xbb00, -v81
	;; [unrolled: 1-line block ×4, first 2 shown]
	v_mul_f16_e32 v76, v65, v84
	v_mul_f16_e32 v77, v31, v84
	;; [unrolled: 1-line block ×12, first 2 shown]
	v_fmamk_f16 v7, v7, 0xbcab, v34
	v_fmamk_f16 v49, v49, 0xbcab, v53
	v_fmac_f16_e32 v64, 0xb70e, v9
	v_fmac_f16_e32 v25, 0xb70e, v9
	;; [unrolled: 1-line block ×3, first 2 shown]
	v_fmamk_f16 v9, v26, 0xbcab, v35
	v_fmamk_f16 v26, v60, 0xbcab, v54
	v_fmac_f16_e32 v46, 0xb70e, v37
	v_fmac_f16_e32 v52, 0xb70e, v37
	;; [unrolled: 1-line block ×8, first 2 shown]
	v_pack_b32_f16 v4, v34, v53
	v_pack_b32_f16 v34, v35, v54
	v_fmac_f16_e32 v76, v31, v0
	v_fma_f16 v0, v65, v0, -v77
	v_fmac_f16_e32 v78, v32, v1
	v_fma_f16 v1, v66, v1, -v79
	v_fmac_f16_e32 v80, v29, v2
	v_fmac_f16_e32 v82, v24, v3
	;; [unrolled: 1-line block ×3, first 2 shown]
	v_fma_f16 v10, v69, v10, -v85
	v_fmac_f16_e32 v86, v42, v11
	v_fma_f16 v11, v51, v11, -v87
	v_add_f16_e32 v24, v44, v7
	v_add_f16_e32 v29, v50, v7
	;; [unrolled: 1-line block ×11, first 2 shown]
	v_fmac_f16_e32 v63, 0xb70e, v37
	v_fma_f16 v2, v67, v2, -v81
	v_fma_f16 v3, v68, v3, -v83
	v_add_f16_e32 v27, v45, v49
	v_add_f16_e32 v43, v33, v7
	v_sub_f16_e32 v44, v30, v52
	v_sub_f16_e32 v45, v29, v25
	v_add_f16_e32 v49, v46, v31
	v_add_f16_e32 v25, v25, v29
	v_sub_f16_e32 v29, v31, v46
	v_sub_f16_e32 v7, v7, v33
	v_add_f16_e32 v30, v52, v30
	v_add_f16_e32 v31, v75, v28
	v_sub_f16_e32 v33, v32, v74
	v_add_f16_e32 v46, v6, v9
	v_sub_f16_e32 v50, v26, v61
	v_sub_f16_e32 v51, v35, v5
	v_add_f16_e32 v52, v59, v36
	v_add_f16_e32 v5, v5, v35
	v_sub_f16_e32 v35, v36, v59
	v_sub_f16_e32 v6, v9, v6
	v_add_f16_e32 v9, v61, v26
	v_sub_f16_e32 v26, v28, v75
	v_add_f16_e32 v28, v74, v32
	v_add_f16_e32 v32, v76, v86
	;; [unrolled: 1-line block ×3, first 2 shown]
	v_sub_f16_e32 v0, v0, v11
	v_add_f16_e32 v11, v78, v84
	v_add_f16_e32 v54, v1, v10
	v_add_f16_e32 v37, v64, v24
	v_sub_f16_e32 v42, v27, v63
	v_sub_f16_e32 v56, v78, v84
	;; [unrolled: 1-line block ×3, first 2 shown]
	v_add_f16_e32 v10, v80, v82
	v_add_f16_e32 v57, v2, v3
	v_sub_f16_e32 v58, v82, v80
	v_sub_f16_e32 v2, v3, v2
	v_add_f16_e32 v3, v11, v32
	v_add_f16_e32 v59, v54, v36
	v_sub_f16_e32 v24, v24, v64
	v_add_f16_e32 v27, v63, v27
	v_sub_f16_e32 v53, v76, v86
	v_sub_f16_e32 v60, v11, v32
	;; [unrolled: 1-line block ×6, first 2 shown]
	v_add_f16_e32 v63, v2, v1
	v_sub_f16_e32 v64, v58, v56
	v_sub_f16_e32 v65, v2, v1
	;; [unrolled: 1-line block ×3, first 2 shown]
	v_pack_b32_f16 v37, v37, v42
	v_add_f16_e32 v3, v10, v3
	v_add_f16_e32 v10, v57, v59
	v_pack_b32_f16 v42, v43, v44
	v_pack_b32_f16 v43, v45, v49
	v_pack_b32_f16 v25, v25, v29
	v_pack_b32_f16 v7, v7, v30
	v_pack_b32_f16 v24, v24, v27
	v_pack_b32_f16 v27, v31, v33
	v_pack_b32_f16 v29, v46, v50
	v_pack_b32_f16 v5, v5, v35
	v_sub_f16_e32 v54, v57, v54
	v_add_f16_e32 v62, v58, v56
	v_sub_f16_e32 v58, v53, v58
	v_sub_f16_e32 v2, v0, v2
	;; [unrolled: 1-line block ×3, first 2 shown]
	v_pack_b32_f16 v30, v51, v52
	v_pack_b32_f16 v6, v6, v9
	;; [unrolled: 1-line block ×3, first 2 shown]
	v_mul_f16_e32 v28, 0x3a52, v32
	v_mul_f16_e32 v31, 0x3a52, v36
	v_mul_f16_e32 v35, 0x3846, v64
	v_mul_f16_e32 v36, 0x3846, v65
	v_mul_f16_e32 v45, 0xbb00, v1
	ds_store_2addr_b32 v48, v4, v37 offset1:52
	ds_store_2addr_b32 v48, v42, v43 offset0:104 offset1:156
	ds_store_2addr_b32 v41, v25, v7 offset0:80 offset1:132
	;; [unrolled: 1-line block ×5, first 2 shown]
	v_add_f16_e32 v4, v3, v8
	v_add_f16_e32 v5, v10, v55
	v_add_f16_e32 v26, v62, v53
	v_add_f16_e32 v0, v63, v0
	v_mul_f16_e32 v32, 0x2b26, v11
	v_mul_f16_e32 v33, 0x2b26, v54
	;; [unrolled: 1-line block ×3, first 2 shown]
	v_fmamk_f16 v7, v11, 0x2b26, v28
	v_fmamk_f16 v8, v54, 0x2b26, v31
	v_fma_f16 v25, v60, 0xb9e0, -v28
	v_fmamk_f16 v28, v58, 0xb574, v35
	v_fmamk_f16 v29, v2, 0xb574, v36
	v_fma_f16 v1, v1, 0xbb00, -v36
	v_fma_f16 v2, v2, 0x3574, -v45
	v_fmamk_f16 v3, v3, 0xbcab, v4
	v_fmamk_f16 v10, v10, 0xbcab, v5
	v_fma_f16 v11, v60, 0x39e0, -v32
	v_fma_f16 v24, v61, 0x39e0, -v33
	;; [unrolled: 1-line block ×4, first 2 shown]
	v_fmac_f16_e32 v28, 0xb70e, v26
	v_fmac_f16_e32 v29, 0xb70e, v0
	;; [unrolled: 1-line block ×4, first 2 shown]
	v_pack_b32_f16 v0, v4, v5
	v_add_f16_e32 v4, v7, v3
	v_add_f16_e32 v5, v8, v10
	v_fma_f16 v30, v56, 0xbb00, -v35
	v_fmac_f16_e32 v31, 0xb70e, v26
	v_add_f16_e32 v7, v11, v3
	v_add_f16_e32 v3, v25, v3
	;; [unrolled: 1-line block ×5, first 2 shown]
	v_sub_f16_e32 v24, v5, v28
	v_fmac_f16_e32 v30, 0xb70e, v26
	v_add_f16_e32 v25, v2, v3
	v_sub_f16_e32 v26, v8, v31
	v_sub_f16_e32 v2, v3, v2
	v_add_f16_e32 v3, v31, v8
	v_pack_b32_f16 v8, v11, v24
	v_mov_b32_e32 v24, v17
	v_lshl_add_u32 v47, v47, 2, 0
	v_sub_f16_e32 v27, v7, v1
	v_add_f16_e32 v32, v30, v10
	v_add_f16_e32 v1, v1, v7
	v_sub_f16_e32 v7, v10, v30
	v_sub_f16_e32 v4, v4, v29
	v_add_f16_e32 v5, v28, v5
	v_add_nc_u32_e32 v72, 0xa00, v47
	v_add_nc_u32_e32 v73, 0xc00, v47
	v_pack_b32_f16 v10, v25, v26
	v_pack_b32_f16 v11, v27, v32
	;; [unrolled: 1-line block ×5, first 2 shown]
	ds_store_2addr_b32 v13, v6, v9 offset0:112 offset1:164
	ds_store_2addr_b32 v72, v0, v8 offset0:88 offset1:140
	;; [unrolled: 1-line block ×4, first 2 shown]
	ds_store_b32 v47, v3 offset:4160
	v_lshlrev_b64_e32 v[2:3], 2, v[23:24]
	v_mov_b32_e32 v23, v17
	v_lshlrev_b64_e32 v[0:1], 2, v[16:17]
	global_wb scope:SCOPE_SE
	s_wait_dscnt 0x0
	s_barrier_signal -1
	s_barrier_wait -1
	v_lshlrev_b64_e32 v[4:5], 2, v[22:23]
	v_mov_b32_e32 v22, v17
	v_add_co_u32 v0, s0, s4, v0
	s_wait_alu 0xf1ff
	v_add_co_ci_u32_e64 v1, s0, s5, v1, s0
	s_delay_alu instid0(VALU_DEP_3) | instskip(SKIP_4) | instid1(VALU_DEP_3)
	v_lshlrev_b64_e32 v[6:7], 2, v[21:22]
	v_mov_b32_e32 v21, v17
	v_add_co_u32 v2, s0, s4, v2
	s_wait_alu 0xf1ff
	v_add_co_ci_u32_e64 v3, s0, s5, v3, s0
	v_lshlrev_b64_e32 v[8:9], 2, v[20:21]
	v_mov_b32_e32 v20, v17
	v_add_co_u32 v4, s0, s4, v4
	s_wait_alu 0xf1ff
	v_add_co_ci_u32_e64 v5, s0, s5, v5, s0
	s_delay_alu instid0(VALU_DEP_3)
	v_lshlrev_b64_e32 v[10:11], 2, v[19:20]
	v_mov_b32_e32 v19, v17
	v_add_co_u32 v6, s0, s4, v6
	s_wait_alu 0xf1ff
	v_add_co_ci_u32_e64 v7, s0, s5, v7, s0
	v_add_co_u32 v8, s0, s4, v8
	v_lshlrev_b64_e32 v[18:19], 2, v[18:19]
	s_wait_alu 0xf1ff
	v_add_co_ci_u32_e64 v9, s0, s5, v9, s0
	v_add_co_u32 v10, s0, s4, v10
	s_wait_alu 0xf1ff
	v_add_co_ci_u32_e64 v11, s0, s5, v11, s0
	v_add_co_u32 v18, s0, s4, v18
	global_inv scope:SCOPE_SE
	s_clause 0x3
	global_load_b64 v[0:1], v[0:1], off offset:1448
	global_load_b64 v[2:3], v[2:3], off offset:1448
	;; [unrolled: 1-line block ×4, first 2 shown]
	s_wait_alu 0xf1ff
	v_add_co_ci_u32_e64 v19, s0, s5, v19, s0
	s_clause 0x2
	global_load_b64 v[8:9], v[8:9], off offset:1448
	global_load_b64 v[10:11], v[10:11], off offset:1448
	;; [unrolled: 1-line block ×3, first 2 shown]
	ds_load_2addr_b32 v[20:21], v48 offset1:52
	ds_load_2addr_b32 v[22:23], v48 offset0:104 offset1:156
	ds_load_2addr_b32 v[24:25], v39 offset0:160 offset1:212
	;; [unrolled: 1-line block ×9, first 2 shown]
	ds_load_b32 v16, v48 offset:4160
	global_wb scope:SCOPE_SE
	s_wait_loadcnt_dscnt 0x0
	s_barrier_signal -1
	s_barrier_wait -1
	global_inv scope:SCOPE_SE
	v_lshrrev_b32_e32 v44, 16, v20
	v_lshrrev_b32_e32 v45, 16, v21
	;; [unrolled: 1-line block ×35, first 2 shown]
	v_mul_f16_e32 v80, v66, v62
	v_mul_f16_e32 v66, v66, v37
	;; [unrolled: 1-line block ×28, first 2 shown]
	v_fmac_f16_e32 v80, v0, v37
	v_fma_f16 v0, v0, v62, -v66
	v_fmac_f16_e32 v81, v1, v42
	v_fma_f16 v1, v1, v63, -v67
	;; [unrolled: 2-line block ×14, first 2 shown]
	v_add_f16_e32 v19, v20, v80
	v_add_f16_e32 v24, v80, v81
	v_sub_f16_e32 v25, v0, v1
	v_add_f16_e32 v26, v44, v0
	v_add_f16_e32 v0, v0, v1
	;; [unrolled: 1-line block ×4, first 2 shown]
	v_sub_f16_e32 v32, v2, v3
	v_add_f16_e32 v33, v45, v2
	v_add_f16_e32 v2, v2, v3
	;; [unrolled: 1-line block ×3, first 2 shown]
	v_sub_f16_e32 v42, v4, v5
	v_add_f16_e32 v43, v46, v4
	v_add_f16_e32 v4, v4, v5
	;; [unrolled: 1-line block ×5, first 2 shown]
	v_sub_f16_e32 v52, v6, v7
	v_add_f16_e32 v54, v50, v6
	v_add_f16_e32 v6, v6, v7
	;; [unrolled: 1-line block ×3, first 2 shown]
	v_sub_f16_e32 v60, v8, v9
	v_add_f16_e32 v61, v53, v8
	v_add_f16_e32 v8, v8, v9
	;; [unrolled: 1-line block ×5, first 2 shown]
	v_sub_f16_e32 v65, v10, v11
	v_add_f16_e32 v66, v56, v10
	v_add_f16_e32 v10, v10, v11
	v_sub_f16_e32 v27, v80, v81
	v_sub_f16_e32 v34, v82, v83
	v_add_f16_e32 v69, v92, v93
	v_sub_f16_e32 v70, v18, v16
	v_add_f16_e32 v71, v59, v18
	v_add_f16_e32 v18, v18, v16
	;; [unrolled: 1-line block ×3, first 2 shown]
	v_fma_f16 v20, -0.5, v24, v20
	v_add_f16_e32 v1, v26, v1
	v_fmac_f16_e32 v44, -0.5, v0
	v_add_f16_e32 v0, v28, v83
	v_fmac_f16_e32 v21, -0.5, v29
	;; [unrolled: 2-line block ×3, first 2 shown]
	v_sub_f16_e32 v47, v84, v85
	v_fma_f16 v22, -0.5, v37, v22
	v_fmac_f16_e32 v46, -0.5, v4
	v_sub_f16_e32 v55, v86, v87
	v_add_f16_e32 v68, v36, v92
	v_add_f16_e32 v2, v35, v85
	;; [unrolled: 1-line block ×4, first 2 shown]
	v_fmac_f16_e32 v23, -0.5, v51
	v_add_f16_e32 v7, v54, v7
	v_fmac_f16_e32 v50, -0.5, v6
	v_sub_f16_e32 v62, v88, v89
	v_fma_f16 v24, -0.5, v58, v30
	v_fmac_f16_e32 v53, -0.5, v8
	v_sub_f16_e32 v67, v90, v91
	v_add_f16_e32 v6, v57, v89
	v_add_f16_e32 v9, v61, v9
	;; [unrolled: 1-line block ×3, first 2 shown]
	v_fmac_f16_e32 v31, -0.5, v64
	v_add_f16_e32 v11, v66, v11
	v_fmac_f16_e32 v56, -0.5, v10
	v_sub_f16_e32 v72, v92, v93
	v_fmac_f16_e32 v36, -0.5, v69
	v_fmac_f16_e32 v59, -0.5, v18
	v_fmamk_f16 v18, v25, 0xbaee, v20
	v_fmac_f16_e32 v20, 0x3aee, v25
	v_fmamk_f16 v25, v27, 0x3aee, v44
	v_fmac_f16_e32 v44, 0xbaee, v27
	;; [unrolled: 2-line block ×4, first 2 shown]
	v_pack_b32_f16 v1, v19, v1
	v_pack_b32_f16 v0, v0, v3
	v_fmamk_f16 v28, v42, 0xbaee, v22
	v_fmamk_f16 v29, v47, 0x3aee, v46
	v_add_f16_e32 v10, v68, v93
	v_add_f16_e32 v16, v71, v16
	v_fmac_f16_e32 v22, 0x3aee, v42
	v_fmac_f16_e32 v46, 0xbaee, v47
	v_fmamk_f16 v30, v52, 0xbaee, v23
	v_fmac_f16_e32 v23, 0x3aee, v52
	v_fmamk_f16 v32, v55, 0x3aee, v50
	v_fmac_f16_e32 v50, 0xbaee, v55
	v_pack_b32_f16 v2, v2, v5
	v_pack_b32_f16 v3, v4, v7
	v_fmamk_f16 v33, v60, 0xbaee, v24
	v_fmamk_f16 v34, v62, 0x3aee, v53
	v_fmac_f16_e32 v24, 0x3aee, v60
	v_fmac_f16_e32 v53, 0xbaee, v62
	v_fmamk_f16 v35, v65, 0xbaee, v31
	v_fmac_f16_e32 v31, 0x3aee, v65
	v_fmamk_f16 v37, v67, 0x3aee, v56
	v_fmac_f16_e32 v56, 0xbaee, v67
	v_pack_b32_f16 v4, v6, v9
	v_pack_b32_f16 v5, v8, v11
	v_fmamk_f16 v42, v70, 0xbaee, v36
	v_fmac_f16_e32 v36, 0x3aee, v70
	v_fmamk_f16 v43, v72, 0x3aee, v59
	v_fmac_f16_e32 v59, 0xbaee, v72
	v_pack_b32_f16 v8, v20, v44
	ds_store_2addr_b32 v48, v1, v0 offset1:52
	v_pack_b32_f16 v1, v21, v45
	v_pack_b32_f16 v0, v26, v27
	;; [unrolled: 1-line block ×5, first 2 shown]
	ds_store_2addr_b32 v48, v2, v3 offset0:104 offset1:156
	v_pack_b32_f16 v3, v23, v50
	v_pack_b32_f16 v2, v30, v32
	;; [unrolled: 1-line block ×4, first 2 shown]
	ds_store_2addr_b32 v41, v4, v5 offset0:80 offset1:132
	v_pack_b32_f16 v5, v31, v56
	v_pack_b32_f16 v7, v18, v25
	;; [unrolled: 1-line block ×5, first 2 shown]
	ds_store_2addr_b32 v40, v8, v1 offset0:88 offset1:140
	ds_store_2addr_b32 v39, v0, v9 offset0:160 offset1:212
	;; [unrolled: 1-line block ×7, first 2 shown]
	ds_store_b32 v48, v19 offset:4160
	global_wb scope:SCOPE_SE
	s_wait_dscnt 0x0
	s_barrier_signal -1
	s_barrier_wait -1
	global_inv scope:SCOPE_SE
	s_and_saveexec_b32 s0, vcc_lo
	s_cbranch_execz .LBB0_31
; %bb.30:
	v_dual_mov_b32 v13, v17 :: v_dual_add_nc_u32 v16, 52, v12
	v_add_co_u32 v31, vcc_lo, s8, v14
	v_lshl_add_u32 v30, v12, 2, 0
	s_delay_alu instid0(VALU_DEP_3) | instskip(NEXT) | instid1(VALU_DEP_4)
	v_lshlrev_b64_e32 v[2:3], 2, v[12:13]
	v_lshlrev_b64_e32 v[4:5], 2, v[16:17]
	v_add_nc_u32_e32 v16, 0x68, v12
	s_wait_alu 0xfffd
	v_add_co_ci_u32_e32 v15, vcc_lo, s9, v15, vcc_lo
	v_add_nc_u32_e32 v18, 0x200, v30
	v_add_co_u32 v2, vcc_lo, v31, v2
	v_lshlrev_b64_e32 v[6:7], 2, v[16:17]
	v_add_nc_u32_e32 v16, 0x9c, v12
	s_wait_alu 0xfffd
	v_add_co_ci_u32_e32 v3, vcc_lo, v15, v3, vcc_lo
	ds_load_2addr_b32 v[0:1], v30 offset1:52
	v_add_co_u32 v4, vcc_lo, v31, v4
	v_lshlrev_b64_e32 v[10:11], 2, v[16:17]
	v_add_nc_u32_e32 v16, 0xd0, v12
	v_add_nc_u32_e32 v32, 0x400, v30
	s_wait_alu 0xfffd
	v_add_co_ci_u32_e32 v5, vcc_lo, v15, v5, vcc_lo
	ds_load_2addr_b32 v[8:9], v30 offset0:104 offset1:156
	v_lshlrev_b64_e32 v[13:14], 2, v[16:17]
	v_add_nc_u32_e32 v16, 0x104, v12
	v_add_co_u32 v6, vcc_lo, v31, v6
	ds_load_2addr_b32 v[18:19], v18 offset0:80 offset1:132
	s_wait_alu 0xfffd
	v_add_co_ci_u32_e32 v7, vcc_lo, v15, v7, vcc_lo
	v_lshlrev_b64_e32 v[20:21], 2, v[16:17]
	v_add_nc_u32_e32 v16, 0x138, v12
	v_add_co_u32 v10, vcc_lo, v31, v10
	ds_load_2addr_b32 v[22:23], v32 offset0:56 offset1:108
	s_wait_alu 0xfffd
	v_add_co_ci_u32_e32 v11, vcc_lo, v15, v11, vcc_lo
	v_lshlrev_b64_e32 v[24:25], 2, v[16:17]
	v_add_nc_u32_e32 v16, 0x16c, v12
	v_add_co_u32 v13, vcc_lo, v31, v13
	s_wait_alu 0xfffd
	v_add_co_ci_u32_e32 v14, vcc_lo, v15, v14, vcc_lo
	s_delay_alu instid0(VALU_DEP_3)
	v_lshlrev_b64_e32 v[26:27], 2, v[16:17]
	v_add_nc_u32_e32 v16, 0x1a0, v12
	v_add_co_u32 v20, vcc_lo, v31, v20
	s_wait_alu 0xfffd
	v_add_co_ci_u32_e32 v21, vcc_lo, v15, v21, vcc_lo
	v_add_co_u32 v24, vcc_lo, v31, v24
	v_lshlrev_b64_e32 v[28:29], 2, v[16:17]
	v_add_nc_u32_e32 v16, 0x1d4, v12
	s_wait_alu 0xfffd
	v_add_co_ci_u32_e32 v25, vcc_lo, v15, v25, vcc_lo
	v_add_co_u32 v26, vcc_lo, v31, v26
	s_wait_alu 0xfffd
	v_add_co_ci_u32_e32 v27, vcc_lo, v15, v27, vcc_lo
	s_wait_dscnt 0x3
	s_clause 0x1
	global_store_b32 v[2:3], v0, off
	global_store_b32 v[4:5], v1, off
	s_wait_dscnt 0x2
	s_clause 0x1
	global_store_b32 v[6:7], v8, off
	global_store_b32 v[10:11], v9, off
	;; [unrolled: 4-line block ×4, first 2 shown]
	v_lshlrev_b64_e32 v[2:3], 2, v[16:17]
	v_add_nc_u32_e32 v16, 0x208, v12
	v_add_co_u32 v4, vcc_lo, v31, v28
	v_add_nc_u32_e32 v18, 0x800, v30
	s_wait_alu 0xfffd
	v_add_co_ci_u32_e32 v5, vcc_lo, v15, v29, vcc_lo
	v_lshlrev_b64_e32 v[6:7], 2, v[16:17]
	v_add_nc_u32_e32 v16, 0x23c, v12
	ds_load_2addr_b32 v[0:1], v32 offset0:160 offset1:212
	v_add_co_u32 v2, vcc_lo, v31, v2
	v_add_nc_u32_e32 v24, 0xa00, v30
	v_lshlrev_b64_e32 v[10:11], 2, v[16:17]
	v_add_nc_u32_e32 v16, 0x270, v12
	s_wait_alu 0xfffd
	v_add_co_ci_u32_e32 v3, vcc_lo, v15, v3, vcc_lo
	ds_load_2addr_b32 v[8:9], v18 offset0:8 offset1:60
	v_add_co_u32 v6, vcc_lo, v31, v6
	v_lshlrev_b64_e32 v[13:14], 2, v[16:17]
	v_add_nc_u32_e32 v16, 0x2a4, v12
	ds_load_2addr_b32 v[18:19], v18 offset0:112 offset1:164
	s_wait_alu 0xfffd
	v_add_co_ci_u32_e32 v7, vcc_lo, v15, v7, vcc_lo
	v_add_co_u32 v10, vcc_lo, v31, v10
	v_lshlrev_b64_e32 v[20:21], 2, v[16:17]
	v_add_nc_u32_e32 v16, 0x2d8, v12
	ds_load_2addr_b32 v[24:25], v24 offset0:88 offset1:140
	s_wait_alu 0xfffd
	v_add_co_ci_u32_e32 v11, vcc_lo, v15, v11, vcc_lo
	v_add_co_u32 v13, vcc_lo, v31, v13
	v_lshlrev_b64_e32 v[22:23], 2, v[16:17]
	v_add_nc_u32_e32 v16, 0x30c, v12
	s_wait_alu 0xfffd
	v_add_co_ci_u32_e32 v14, vcc_lo, v15, v14, vcc_lo
	v_add_co_u32 v20, vcc_lo, v31, v20
	s_delay_alu instid0(VALU_DEP_3) | instskip(SKIP_4) | instid1(VALU_DEP_3)
	v_lshlrev_b64_e32 v[26:27], 2, v[16:17]
	v_add_nc_u32_e32 v16, 0x340, v12
	s_wait_alu 0xfffd
	v_add_co_ci_u32_e32 v21, vcc_lo, v15, v21, vcc_lo
	v_add_co_u32 v22, vcc_lo, v31, v22
	v_lshlrev_b64_e32 v[28:29], 2, v[16:17]
	v_add_nc_u32_e32 v16, 0x374, v12
	s_wait_alu 0xfffd
	v_add_co_ci_u32_e32 v23, vcc_lo, v15, v23, vcc_lo
	v_add_co_u32 v26, vcc_lo, v31, v26
	v_add_nc_u32_e32 v32, 0xc00, v30
	s_wait_alu 0xfffd
	v_add_co_ci_u32_e32 v27, vcc_lo, v15, v27, vcc_lo
	s_wait_dscnt 0x3
	s_clause 0x1
	global_store_b32 v[4:5], v0, off
	global_store_b32 v[2:3], v1, off
	s_wait_dscnt 0x2
	s_clause 0x1
	global_store_b32 v[6:7], v8, off
	global_store_b32 v[10:11], v9, off
	;; [unrolled: 4-line block ×4, first 2 shown]
	v_lshlrev_b64_e32 v[2:3], 2, v[16:17]
	v_add_nc_u32_e32 v16, 0x3a8, v12
	ds_load_2addr_b32 v[0:1], v32 offset0:64 offset1:116
	ds_load_2addr_b32 v[6:7], v32 offset0:168 offset1:220
	ds_load_b32 v14, v30 offset:4160
	v_add_co_u32 v4, vcc_lo, v31, v28
	v_lshlrev_b64_e32 v[8:9], 2, v[16:17]
	v_add_nc_u32_e32 v16, 0x3dc, v12
	s_wait_alu 0xfffd
	v_add_co_ci_u32_e32 v5, vcc_lo, v15, v29, vcc_lo
	v_add_co_u32 v2, vcc_lo, v31, v2
	s_delay_alu instid0(VALU_DEP_3) | instskip(SKIP_4) | instid1(VALU_DEP_3)
	v_lshlrev_b64_e32 v[10:11], 2, v[16:17]
	v_add_nc_u32_e32 v16, 0x410, v12
	s_wait_alu 0xfffd
	v_add_co_ci_u32_e32 v3, vcc_lo, v15, v3, vcc_lo
	v_add_co_u32 v8, vcc_lo, v31, v8
	v_lshlrev_b64_e32 v[12:13], 2, v[16:17]
	s_wait_alu 0xfffd
	v_add_co_ci_u32_e32 v9, vcc_lo, v15, v9, vcc_lo
	v_add_co_u32 v10, vcc_lo, v31, v10
	s_wait_alu 0xfffd
	v_add_co_ci_u32_e32 v11, vcc_lo, v15, v11, vcc_lo
	v_add_co_u32 v12, vcc_lo, v31, v12
	s_wait_alu 0xfffd
	v_add_co_ci_u32_e32 v13, vcc_lo, v15, v13, vcc_lo
	s_wait_dscnt 0x2
	s_clause 0x1
	global_store_b32 v[4:5], v0, off
	global_store_b32 v[2:3], v1, off
	s_wait_dscnt 0x1
	s_clause 0x1
	global_store_b32 v[8:9], v6, off
	global_store_b32 v[10:11], v7, off
	s_wait_dscnt 0x0
	global_store_b32 v[12:13], v14, off
.LBB0_31:
	s_nop 0
	s_sendmsg sendmsg(MSG_DEALLOC_VGPRS)
	s_endpgm
	.section	.rodata,"a",@progbits
	.p2align	6, 0x0
	.amdhsa_kernel fft_rtc_back_len1092_factors_2_2_13_7_3_wgs_52_tpt_52_halfLds_half_ip_CI_unitstride_sbrr_C2R_dirReg
		.amdhsa_group_segment_fixed_size 0
		.amdhsa_private_segment_fixed_size 0
		.amdhsa_kernarg_size 88
		.amdhsa_user_sgpr_count 2
		.amdhsa_user_sgpr_dispatch_ptr 0
		.amdhsa_user_sgpr_queue_ptr 0
		.amdhsa_user_sgpr_kernarg_segment_ptr 1
		.amdhsa_user_sgpr_dispatch_id 0
		.amdhsa_user_sgpr_private_segment_size 0
		.amdhsa_wavefront_size32 1
		.amdhsa_uses_dynamic_stack 0
		.amdhsa_enable_private_segment 0
		.amdhsa_system_sgpr_workgroup_id_x 1
		.amdhsa_system_sgpr_workgroup_id_y 0
		.amdhsa_system_sgpr_workgroup_id_z 0
		.amdhsa_system_sgpr_workgroup_info 0
		.amdhsa_system_vgpr_workitem_id 0
		.amdhsa_next_free_vgpr 206
		.amdhsa_next_free_sgpr 32
		.amdhsa_reserve_vcc 1
		.amdhsa_float_round_mode_32 0
		.amdhsa_float_round_mode_16_64 0
		.amdhsa_float_denorm_mode_32 3
		.amdhsa_float_denorm_mode_16_64 3
		.amdhsa_fp16_overflow 0
		.amdhsa_workgroup_processor_mode 1
		.amdhsa_memory_ordered 1
		.amdhsa_forward_progress 0
		.amdhsa_round_robin_scheduling 0
		.amdhsa_exception_fp_ieee_invalid_op 0
		.amdhsa_exception_fp_denorm_src 0
		.amdhsa_exception_fp_ieee_div_zero 0
		.amdhsa_exception_fp_ieee_overflow 0
		.amdhsa_exception_fp_ieee_underflow 0
		.amdhsa_exception_fp_ieee_inexact 0
		.amdhsa_exception_int_div_zero 0
	.end_amdhsa_kernel
	.text
.Lfunc_end0:
	.size	fft_rtc_back_len1092_factors_2_2_13_7_3_wgs_52_tpt_52_halfLds_half_ip_CI_unitstride_sbrr_C2R_dirReg, .Lfunc_end0-fft_rtc_back_len1092_factors_2_2_13_7_3_wgs_52_tpt_52_halfLds_half_ip_CI_unitstride_sbrr_C2R_dirReg
                                        ; -- End function
	.section	.AMDGPU.csdata,"",@progbits
; Kernel info:
; codeLenInByte = 18596
; NumSgprs: 34
; NumVgprs: 206
; ScratchSize: 0
; MemoryBound: 0
; FloatMode: 240
; IeeeMode: 1
; LDSByteSize: 0 bytes/workgroup (compile time only)
; SGPRBlocks: 4
; VGPRBlocks: 25
; NumSGPRsForWavesPerEU: 34
; NumVGPRsForWavesPerEU: 206
; Occupancy: 7
; WaveLimiterHint : 1
; COMPUTE_PGM_RSRC2:SCRATCH_EN: 0
; COMPUTE_PGM_RSRC2:USER_SGPR: 2
; COMPUTE_PGM_RSRC2:TRAP_HANDLER: 0
; COMPUTE_PGM_RSRC2:TGID_X_EN: 1
; COMPUTE_PGM_RSRC2:TGID_Y_EN: 0
; COMPUTE_PGM_RSRC2:TGID_Z_EN: 0
; COMPUTE_PGM_RSRC2:TIDIG_COMP_CNT: 0
	.text
	.p2alignl 7, 3214868480
	.fill 96, 4, 3214868480
	.type	__hip_cuid_630cddd68e57e196,@object ; @__hip_cuid_630cddd68e57e196
	.section	.bss,"aw",@nobits
	.globl	__hip_cuid_630cddd68e57e196
__hip_cuid_630cddd68e57e196:
	.byte	0                               ; 0x0
	.size	__hip_cuid_630cddd68e57e196, 1

	.ident	"AMD clang version 19.0.0git (https://github.com/RadeonOpenCompute/llvm-project roc-6.4.0 25133 c7fe45cf4b819c5991fe208aaa96edf142730f1d)"
	.section	".note.GNU-stack","",@progbits
	.addrsig
	.addrsig_sym __hip_cuid_630cddd68e57e196
	.amdgpu_metadata
---
amdhsa.kernels:
  - .args:
      - .actual_access:  read_only
        .address_space:  global
        .offset:         0
        .size:           8
        .value_kind:     global_buffer
      - .offset:         8
        .size:           8
        .value_kind:     by_value
      - .actual_access:  read_only
        .address_space:  global
        .offset:         16
        .size:           8
        .value_kind:     global_buffer
      - .actual_access:  read_only
        .address_space:  global
        .offset:         24
        .size:           8
        .value_kind:     global_buffer
      - .offset:         32
        .size:           8
        .value_kind:     by_value
      - .actual_access:  read_only
        .address_space:  global
        .offset:         40
        .size:           8
        .value_kind:     global_buffer
      - .actual_access:  read_only
        .address_space:  global
        .offset:         48
        .size:           8
        .value_kind:     global_buffer
      - .offset:         56
        .size:           4
        .value_kind:     by_value
      - .actual_access:  read_only
        .address_space:  global
        .offset:         64
        .size:           8
        .value_kind:     global_buffer
      - .actual_access:  read_only
        .address_space:  global
        .offset:         72
        .size:           8
        .value_kind:     global_buffer
      - .address_space:  global
        .offset:         80
        .size:           8
        .value_kind:     global_buffer
    .group_segment_fixed_size: 0
    .kernarg_segment_align: 8
    .kernarg_segment_size: 88
    .language:       OpenCL C
    .language_version:
      - 2
      - 0
    .max_flat_workgroup_size: 52
    .name:           fft_rtc_back_len1092_factors_2_2_13_7_3_wgs_52_tpt_52_halfLds_half_ip_CI_unitstride_sbrr_C2R_dirReg
    .private_segment_fixed_size: 0
    .sgpr_count:     34
    .sgpr_spill_count: 0
    .symbol:         fft_rtc_back_len1092_factors_2_2_13_7_3_wgs_52_tpt_52_halfLds_half_ip_CI_unitstride_sbrr_C2R_dirReg.kd
    .uniform_work_group_size: 1
    .uses_dynamic_stack: false
    .vgpr_count:     206
    .vgpr_spill_count: 0
    .wavefront_size: 32
    .workgroup_processor_mode: 1
amdhsa.target:   amdgcn-amd-amdhsa--gfx1201
amdhsa.version:
  - 1
  - 2
...

	.end_amdgpu_metadata
